;; amdgpu-corpus repo=ROCm/rocFFT kind=compiled arch=gfx1201 opt=O3
	.text
	.amdgcn_target "amdgcn-amd-amdhsa--gfx1201"
	.amdhsa_code_object_version 6
	.protected	bluestein_single_fwd_len1105_dim1_sp_op_CI_CI ; -- Begin function bluestein_single_fwd_len1105_dim1_sp_op_CI_CI
	.globl	bluestein_single_fwd_len1105_dim1_sp_op_CI_CI
	.p2align	8
	.type	bluestein_single_fwd_len1105_dim1_sp_op_CI_CI,@function
bluestein_single_fwd_len1105_dim1_sp_op_CI_CI: ; @bluestein_single_fwd_len1105_dim1_sp_op_CI_CI
; %bb.0:
	s_load_b128 s[8:11], s[0:1], 0x28
	v_mul_u32_u24_e32 v1, 0x304, v0
	s_mov_b32 s2, exec_lo
	s_delay_alu instid0(VALU_DEP_1) | instskip(NEXT) | instid1(VALU_DEP_1)
	v_lshrrev_b32_e32 v1, 16, v1
	v_mad_co_u64_u32 v[84:85], null, ttmp9, 3, v[1:2]
	v_mov_b32_e32 v85, 0
	s_wait_kmcnt 0x0
	s_delay_alu instid0(VALU_DEP_1)
	v_cmpx_gt_u64_e64 s[8:9], v[84:85]
	s_cbranch_execz .LBB0_23
; %bb.1:
	v_mul_hi_u32 v2, 0xaaaaaaab, v84
	s_clause 0x1
	s_load_b64 s[8:9], s[0:1], 0x0
	s_load_b64 s[12:13], s[0:1], 0x38
	v_mul_lo_u16 v1, 0x55, v1
	s_delay_alu instid0(VALU_DEP_1) | instskip(NEXT) | instid1(VALU_DEP_3)
	v_sub_nc_u16 v0, v0, v1
	v_lshrrev_b32_e32 v2, 1, v2
	s_delay_alu instid0(VALU_DEP_2) | instskip(NEXT) | instid1(VALU_DEP_2)
	v_and_b32_e32 v88, 0xffff, v0
	v_lshl_add_u32 v2, v2, 1, v2
	v_cmp_gt_u16_e32 vcc_lo, 0x41, v0
	s_delay_alu instid0(VALU_DEP_3) | instskip(NEXT) | instid1(VALU_DEP_3)
	v_lshlrev_b32_e32 v87, 3, v88
	v_sub_nc_u32_e32 v1, v84, v2
	s_delay_alu instid0(VALU_DEP_1) | instskip(NEXT) | instid1(VALU_DEP_1)
	v_mul_u32_u24_e32 v89, 0x451, v1
	v_lshlrev_b32_e32 v90, 3, v89
	s_and_saveexec_b32 s3, vcc_lo
	s_cbranch_execz .LBB0_3
; %bb.2:
	s_load_b64 s[4:5], s[0:1], 0x18
	s_delay_alu instid0(VALU_DEP_1) | instskip(SKIP_1) | instid1(VALU_DEP_1)
	v_lshl_add_u32 v71, v88, 3, v90
	v_add_nc_u32_e32 v70, v90, v87
	v_add_nc_u32_e32 v72, 0x400, v70
	;; [unrolled: 1-line block ×5, first 2 shown]
	s_wait_kmcnt 0x0
	s_load_b128 s[4:7], s[4:5], 0x0
	s_wait_kmcnt 0x0
	v_mad_co_u64_u32 v[0:1], null, s6, v84, 0
	v_mad_co_u64_u32 v[2:3], null, s4, v88, 0
	s_delay_alu instid0(VALU_DEP_1) | instskip(NEXT) | instid1(VALU_DEP_1)
	v_mad_co_u64_u32 v[4:5], null, s7, v84, v[1:2]
	v_mad_co_u64_u32 v[5:6], null, s5, v88, v[3:4]
	v_mov_b32_e32 v1, v4
	s_mul_u64 s[4:5], s[4:5], 0x208
	s_delay_alu instid0(VALU_DEP_1) | instskip(NEXT) | instid1(VALU_DEP_3)
	v_lshlrev_b64_e32 v[0:1], 3, v[0:1]
	v_mov_b32_e32 v3, v5
	s_clause 0x3
	global_load_b64 v[4:5], v87, s[8:9]
	global_load_b64 v[6:7], v87, s[8:9] offset:520
	global_load_b64 v[8:9], v87, s[8:9] offset:1040
	;; [unrolled: 1-line block ×3, first 2 shown]
	v_lshlrev_b64_e32 v[2:3], 3, v[2:3]
	v_add_co_u32 v18, s2, s10, v0
	s_delay_alu instid0(VALU_DEP_1)
	v_add_co_ci_u32_e64 v19, s2, s11, v1, s2
	s_clause 0x3
	global_load_b64 v[0:1], v87, s[8:9] offset:2080
	global_load_b64 v[12:13], v87, s[8:9] offset:2600
	;; [unrolled: 1-line block ×4, first 2 shown]
	v_add_co_u32 v2, s2, v18, v2
	s_wait_alu 0xf1ff
	v_add_co_ci_u32_e64 v3, s2, v19, v3, s2
	s_clause 0x3
	global_load_b64 v[20:21], v87, s[8:9] offset:4160
	global_load_b64 v[22:23], v87, s[8:9] offset:4680
	global_load_b64 v[24:25], v87, s[8:9] offset:5200
	global_load_b64 v[26:27], v87, s[8:9] offset:5720
	s_wait_alu 0xfffe
	v_add_co_u32 v18, s2, v2, s4
	s_wait_alu 0xf1ff
	v_add_co_ci_u32_e64 v19, s2, s5, v3, s2
	s_clause 0x2
	global_load_b64 v[30:31], v87, s[8:9] offset:6240
	global_load_b64 v[32:33], v87, s[8:9] offset:6760
	;; [unrolled: 1-line block ×3, first 2 shown]
	v_add_co_u32 v28, s2, v18, s4
	s_wait_alu 0xf1ff
	v_add_co_ci_u32_e64 v29, s2, s5, v19, s2
	global_load_b64 v[2:3], v[2:3], off
	v_add_co_u32 v36, s2, v28, s4
	s_wait_alu 0xf1ff
	v_add_co_ci_u32_e64 v37, s2, s5, v29, s2
	s_delay_alu instid0(VALU_DEP_2) | instskip(SKIP_1) | instid1(VALU_DEP_2)
	v_add_co_u32 v38, s2, v36, s4
	s_wait_alu 0xf1ff
	v_add_co_ci_u32_e64 v39, s2, s5, v37, s2
	s_clause 0x2
	global_load_b64 v[18:19], v[18:19], off
	global_load_b64 v[28:29], v[28:29], off
	;; [unrolled: 1-line block ×3, first 2 shown]
	v_add_co_u32 v40, s2, v38, s4
	s_wait_alu 0xf1ff
	v_add_co_ci_u32_e64 v41, s2, s5, v39, s2
	global_load_b64 v[38:39], v[38:39], off
	v_add_co_u32 v42, s2, v40, s4
	s_wait_alu 0xf1ff
	v_add_co_ci_u32_e64 v43, s2, s5, v41, s2
	global_load_b64 v[40:41], v[40:41], off
	;; [unrolled: 4-line block ×11, first 2 shown]
	v_add_co_u32 v62, s2, v60, s4
	s_wait_alu 0xf1ff
	v_add_co_ci_u32_e64 v63, s2, s5, v61, s2
	global_load_b64 v[64:65], v87, s[8:9] offset:7800
	global_load_b64 v[60:61], v[60:61], off
	global_load_b64 v[66:67], v87, s[8:9] offset:8320
	global_load_b64 v[62:63], v[62:63], off
	v_add_nc_u32_e32 v76, 0x1400, v70
	s_wait_loadcnt 0x12
	v_mul_f32_e32 v68, v3, v5
	v_mul_f32_e32 v5, v2, v5
	s_delay_alu instid0(VALU_DEP_2) | instskip(NEXT) | instid1(VALU_DEP_2)
	v_dual_fmac_f32 v68, v2, v4 :: v_dual_add_nc_u32 v75, 0x1000, v70
	v_fma_f32 v69, v3, v4, -v5
	s_wait_loadcnt 0x11
	v_mul_f32_e32 v2, v19, v7
	s_wait_loadcnt 0x10
	v_dual_mul_f32 v3, v18, v7 :: v_dual_mul_f32 v4, v29, v9
	s_wait_loadcnt 0xf
	v_mul_f32_e32 v7, v36, v11
	v_dual_mul_f32 v5, v28, v9 :: v_dual_fmac_f32 v2, v18, v6
	s_delay_alu instid0(VALU_DEP_3) | instskip(SKIP_4) | instid1(VALU_DEP_3)
	v_fma_f32 v3, v19, v6, -v3
	s_wait_loadcnt 0xe
	v_dual_mul_f32 v6, v37, v11 :: v_dual_mul_f32 v9, v39, v1
	v_dual_fmac_f32 v4, v28, v8 :: v_dual_mul_f32 v1, v38, v1
	v_fma_f32 v5, v29, v8, -v5
	v_dual_fmac_f32 v6, v36, v10 :: v_dual_fmac_f32 v9, v38, v0
	v_fma_f32 v7, v37, v10, -v7
	s_delay_alu instid0(VALU_DEP_4)
	v_fma_f32 v10, v39, v0, -v1
	ds_store_b64 v71, v[68:69]
	s_wait_loadcnt 0xd
	v_mul_f32_e32 v8, v40, v13
	ds_store_2addr_b64 v70, v[2:3], v[4:5] offset0:65 offset1:130
	ds_store_2addr_b64 v72, v[6:7], v[9:10] offset0:67 offset1:132
	s_wait_loadcnt 0xb
	v_mul_f32_e32 v0, v45, v17
	s_wait_loadcnt 0xa
	v_mul_f32_e32 v2, v47, v21
	s_delay_alu instid0(VALU_DEP_1)
	v_dual_mul_f32 v1, v44, v17 :: v_dual_fmac_f32 v2, v46, v20
	s_wait_loadcnt 0x9
	v_mul_f32_e32 v5, v48, v23
	v_dual_mul_f32 v11, v41, v13 :: v_dual_fmac_f32 v0, v44, v16
	v_mul_f32_e32 v13, v43, v15
	v_mul_f32_e32 v15, v42, v15
	s_wait_loadcnt 0x8
	v_mul_f32_e32 v7, v50, v25
	v_dual_fmac_f32 v11, v40, v12 :: v_dual_mul_f32 v4, v49, v23
	v_fma_f32 v12, v41, v12, -v8
	v_dual_fmac_f32 v13, v42, v14 :: v_dual_mul_f32 v6, v51, v25
	v_fma_f32 v14, v43, v14, -v15
	s_wait_loadcnt 0x7
	v_dual_mul_f32 v8, v53, v27 :: v_dual_mul_f32 v3, v46, v21
	v_fmac_f32_e32 v4, v48, v22
	s_wait_loadcnt 0x6
	v_mul_f32_e32 v10, v55, v31
	ds_store_2addr_b64 v73, v[11:12], v[13:14] offset0:69 offset1:134
	v_dual_mul_f32 v9, v52, v27 :: v_dual_fmac_f32 v6, v50, v24
	s_wait_loadcnt 0x5
	v_mul_f32_e32 v12, v57, v33
	v_dual_fmac_f32 v8, v52, v26 :: v_dual_mul_f32 v11, v54, v31
	v_mul_f32_e32 v13, v56, v33
	v_fma_f32 v1, v45, v16, -v1
	s_wait_loadcnt 0x4
	v_mul_f32_e32 v14, v59, v35
	v_mul_f32_e32 v15, v58, v35
	s_wait_loadcnt 0x2
	v_dual_fmac_f32 v10, v54, v30 :: v_dual_mul_f32 v17, v60, v65
	s_wait_loadcnt 0x0
	v_dual_fmac_f32 v12, v56, v32 :: v_dual_mul_f32 v19, v62, v67
	v_mul_f32_e32 v16, v61, v65
	v_mul_f32_e32 v18, v63, v67
	v_fma_f32 v3, v47, v20, -v3
	v_fma_f32 v5, v49, v22, -v5
	;; [unrolled: 1-line block ×6, first 2 shown]
	v_fmac_f32_e32 v14, v58, v34
	v_fma_f32 v15, v59, v34, -v15
	v_fmac_f32_e32 v16, v60, v64
	v_fma_f32 v17, v61, v64, -v17
	;; [unrolled: 2-line block ×3, first 2 shown]
	v_add_nc_u32_e32 v20, 0x1c00, v70
	ds_store_2addr_b64 v74, v[0:1], v[2:3] offset0:71 offset1:136
	ds_store_2addr_b64 v75, v[4:5], v[6:7] offset0:73 offset1:138
	;; [unrolled: 1-line block ×5, first 2 shown]
.LBB0_3:
	s_or_b32 exec_lo, exec_lo, s3
	s_clause 0x1
	s_load_b64 s[4:5], s[0:1], 0x20
	s_load_b64 s[2:3], s[0:1], 0x8
	v_mov_b32_e32 v0, 0
	v_mov_b32_e32 v1, 0
	global_wb scope:SCOPE_SE
	s_wait_dscnt 0x0
	s_wait_kmcnt 0x0
	s_barrier_signal -1
	s_barrier_wait -1
	global_inv scope:SCOPE_SE
                                        ; implicit-def: $vgpr18
                                        ; implicit-def: $vgpr12
                                        ; implicit-def: $vgpr8
                                        ; implicit-def: $vgpr4
                                        ; implicit-def: $vgpr36
                                        ; implicit-def: $vgpr26
                                        ; implicit-def: $vgpr34
                                        ; implicit-def: $vgpr30
	s_and_saveexec_b32 s0, vcc_lo
	s_cbranch_execz .LBB0_5
; %bb.4:
	v_lshl_add_u32 v20, v89, 3, v87
	s_delay_alu instid0(VALU_DEP_1)
	v_add_nc_u32_e32 v4, 0x800, v20
	v_add_nc_u32_e32 v5, 0x1000, v20
	;; [unrolled: 1-line block ×3, first 2 shown]
	ds_load_2addr_b64 v[0:3], v20 offset1:65
	ds_load_2addr_b64 v[28:31], v20 offset0:130 offset1:195
	ds_load_2addr_b64 v[32:35], v4 offset0:4 offset1:69
	;; [unrolled: 1-line block ×7, first 2 shown]
	ds_load_b64 v[36:37], v20 offset:8320
.LBB0_5:
	s_wait_alu 0xfffe
	s_or_b32 exec_lo, exec_lo, s0
	s_wait_dscnt 0x0
	v_dual_sub_f32 v43, v3, v37 :: v_dual_sub_f32 v124, v2, v36
	v_dual_add_f32 v46, v36, v2 :: v_dual_add_f32 v47, v37, v3
	v_sub_f32_e32 v168, v30, v4
	s_delay_alu instid0(VALU_DEP_3)
	v_dual_mul_f32 v70, 0xbf2c7751, v43 :: v_dual_mul_f32 v73, 0xbf2c7751, v124
	v_dual_mul_f32 v79, 0xbf65296c, v43 :: v_dual_mul_f32 v92, 0xbf65296c, v124
	global_wb scope:SCOPE_SE
	v_dual_fmamk_f32 v22, v46, 0x3f3d2fb0, v70 :: v_dual_sub_f32 v133, v29, v7
	v_fma_f32 v23, 0x3f3d2fb0, v47, -v73
	v_mul_f32_e32 v66, 0xbeb8f4ab, v124
	v_sub_f32_e32 v146, v28, v6
	v_dual_fmamk_f32 v38, v46, 0x3ee437d1, v79 :: v_dual_add_f32 v49, v7, v29
	s_delay_alu instid0(VALU_DEP_4) | instskip(NEXT) | instid1(VALU_DEP_4)
	v_add_f32_e32 v23, v23, v1
	v_fma_f32 v21, 0x3f6eb680, v47, -v66
	v_mul_f32_e32 v62, 0xbeb8f4ab, v43
	v_dual_mul_f32 v93, 0xbf4c4adb, v133 :: v_dual_add_f32 v22, v22, v0
	v_mul_f32_e32 v69, 0xbf2c7751, v146
	s_delay_alu instid0(VALU_DEP_4) | instskip(SKIP_4) | instid1(VALU_DEP_4)
	v_add_f32_e32 v21, v21, v1
	v_fma_f32 v39, 0x3ee437d1, v47, -v92
	v_fmamk_f32 v20, v46, 0x3f6eb680, v62
	v_dual_add_f32 v48, v6, v28 :: v_dual_mul_f32 v99, 0xbf4c4adb, v146
	v_fma_f32 v50, 0x3f3d2fb0, v49, -v69
	v_dual_mul_f32 v42, 0xbf7ee86f, v124 :: v_dual_add_f32 v39, v39, v1
	s_delay_alu instid0(VALU_DEP_4) | instskip(SKIP_1) | instid1(VALU_DEP_4)
	v_dual_add_f32 v20, v20, v0 :: v_dual_mul_f32 v65, 0xbf2c7751, v133
	v_dual_mul_f32 v80, 0xbf7ee86f, v146 :: v_dual_sub_f32 v167, v31, v5
	v_add_f32_e32 v21, v50, v21
	s_delay_alu instid0(VALU_DEP_4)
	v_fma_f32 v41, 0x3dbcf732, v47, -v42
	v_mul_f32_e32 v44, 0xbf7ee86f, v43
	v_dual_add_f32 v38, v38, v0 :: v_dual_fmamk_f32 v45, v48, 0x3f3d2fb0, v65
	v_fma_f32 v50, 0x3dbcf732, v49, -v80
	v_mul_f32_e32 v74, 0xbf7ee86f, v133
	v_add_f32_e32 v41, v41, v1
	v_fma_f32 v52, 0xbf1a4643, v49, -v99
	v_fmamk_f32 v40, v46, 0x3dbcf732, v44
	v_dual_add_f32 v20, v45, v20 :: v_dual_mul_f32 v45, 0xbe3c28d5, v133
	v_add_f32_e32 v23, v50, v23
	s_delay_alu instid0(VALU_DEP_4) | instskip(NEXT) | instid1(VALU_DEP_4)
	v_add_f32_e32 v39, v52, v39
	v_add_f32_e32 v40, v40, v0
	v_fmamk_f32 v51, v48, 0x3dbcf732, v74
	v_fmamk_f32 v50, v48, 0xbf7ba420, v45
	v_mul_f32_e32 v119, 0xbe3c28d5, v146
	v_mul_f32_e32 v77, 0xbf4c4adb, v167
	s_delay_alu instid0(VALU_DEP_4) | instskip(NEXT) | instid1(VALU_DEP_4)
	v_dual_mul_f32 v67, 0xbf65296c, v167 :: v_dual_add_f32 v22, v51, v22
	v_dual_fmamk_f32 v51, v48, 0xbf1a4643, v93 :: v_dual_add_f32 v40, v50, v40
	v_add_f32_e32 v50, v4, v30
	s_barrier_signal -1
	s_barrier_wait -1
	s_delay_alu instid0(VALU_DEP_2)
	v_add_f32_e32 v38, v51, v38
	v_fma_f32 v51, 0xbf7ba420, v49, -v119
	global_inv scope:SCOPE_SE
	v_sub_f32_e32 v181, v32, v10
	v_dual_mul_f32 v127, 0x3f763a35, v167 :: v_dual_sub_f32 v186, v34, v8
	v_add_f32_e32 v41, v51, v41
	v_dual_add_f32 v51, v5, v31 :: v_dual_mul_f32 v68, 0xbf65296c, v168
	v_dual_mul_f32 v98, 0x3e3c28d5, v167 :: v_dual_mul_f32 v105, 0x3e3c28d5, v168
	v_mul_f32_e32 v157, 0x3f763a35, v168
	v_mul_f32_e32 v72, 0xbf7ee86f, v181
	s_delay_alu instid0(VALU_DEP_4) | instskip(SKIP_3) | instid1(VALU_DEP_4)
	v_fma_f32 v53, 0x3ee437d1, v51, -v68
	v_dual_sub_f32 v187, v35, v9 :: v_dual_mul_f32 v76, 0xbf763a35, v186
	v_mul_f32_e32 v97, 0xbe3c28d5, v181
	v_mul_f32_e32 v123, 0x3f2c7751, v186
	v_add_f32_e32 v21, v53, v21
	v_fma_f32 v53, 0xbf7ba420, v51, -v105
	v_fmamk_f32 v54, v50, 0xbf1a4643, v77
	v_dual_mul_f32 v173, 0xbf65296c, v187 :: v_dual_mul_f32 v182, 0xbf65296c, v186
	v_mul_f32_e32 v109, 0x3f763a35, v181
	s_delay_alu instid0(VALU_DEP_4) | instskip(NEXT) | instid1(VALU_DEP_4)
	v_add_f32_e32 v39, v53, v39
	v_dual_mul_f32 v83, 0xbf4c4adb, v168 :: v_dual_add_f32 v22, v54, v22
	v_dual_add_f32 v53, v11, v33 :: v_dual_sub_f32 v188, v25, v15
	v_mul_f32_e32 v108, 0x3f2c7751, v187
	s_delay_alu instid0(VALU_DEP_3) | instskip(SKIP_1) | instid1(VALU_DEP_4)
	v_fma_f32 v55, 0xbf1a4643, v51, -v83
	v_dual_fmamk_f32 v52, v50, 0x3ee437d1, v67 :: v_dual_sub_f32 v195, v24, v14
	v_mul_f32_e32 v102, 0x3f763a35, v188
	s_delay_alu instid0(VALU_DEP_3) | instskip(NEXT) | instid1(VALU_DEP_3)
	v_dual_mul_f32 v78, 0xbf4c4adb, v188 :: v_dual_add_f32 v23, v55, v23
	v_add_f32_e32 v20, v52, v20
	v_fmamk_f32 v52, v50, 0xbf7ba420, v98
	v_fma_f32 v55, 0xbe8c1d8e, v51, -v157
	v_sub_f32_e32 v180, v33, v11
	v_dual_sub_f32 v196, v27, v13 :: v_dual_mul_f32 v191, 0xbf06c442, v195
	s_delay_alu instid0(VALU_DEP_4) | instskip(NEXT) | instid1(VALU_DEP_4)
	v_add_f32_e32 v38, v52, v38
	v_dual_add_f32 v52, v10, v32 :: v_dual_add_f32 v41, v55, v41
	s_delay_alu instid0(VALU_DEP_4)
	v_mul_f32_e32 v71, 0xbf7ee86f, v180
	v_mul_f32_e32 v91, 0xbe3c28d5, v180
	;; [unrolled: 1-line block ×4, first 2 shown]
	v_dual_mul_f32 v190, 0x3f4c4adb, v196 :: v_dual_sub_f32 v199, v16, v18
	v_fmamk_f32 v56, v52, 0x3dbcf732, v71
	v_fmamk_f32 v55, v52, 0xbf7ba420, v91
	v_mul_f32_e32 v81, 0xbf4c4adb, v195
	v_mul_f32_e32 v106, 0x3f763a35, v195
	s_delay_alu instid0(VALU_DEP_4) | instskip(SKIP_4) | instid1(VALU_DEP_3)
	v_dual_mul_f32 v163, 0xbeb8f4ab, v195 :: v_dual_add_f32 v20, v56, v20
	v_fma_f32 v56, 0xbf7ba420, v53, -v97
	v_fmamk_f32 v54, v50, 0xbe8c1d8e, v127
	v_dual_add_f32 v22, v55, v22 :: v_dual_mul_f32 v75, 0xbf763a35, v187
	v_mul_f32_e32 v189, 0xbf06c442, v188
	v_dual_add_f32 v23, v56, v23 :: v_dual_add_f32 v40, v54, v40
	v_fma_f32 v54, 0x3dbcf732, v53, -v72
	v_add_f32_e32 v56, v8, v34
	v_sub_f32_e32 v198, v17, v19
	v_mul_f32_e32 v194, 0x3f2c7751, v199
	v_mul_f32_e32 v147, 0x3eb8f4ab, v199
	v_add_f32_e32 v21, v54, v21
	v_fma_f32 v54, 0xbe8c1d8e, v53, -v109
	v_fmamk_f32 v58, v56, 0xbe8c1d8e, v75
	v_mul_f32_e32 v169, 0x3eb8f4ab, v181
	v_mul_f32_e32 v193, 0x3f2c7751, v198
	v_mul_f32_e32 v107, 0x3eb8f4ab, v198
	v_dual_add_f32 v39, v54, v39 :: v_dual_fmamk_f32 v54, v52, 0x3f6eb680, v159
	v_dual_fmamk_f32 v57, v52, 0xbe8c1d8e, v103 :: v_dual_add_f32 v20, v58, v20
	v_fma_f32 v55, 0x3f6eb680, v53, -v169
	v_mul_f32_e32 v94, 0x3f06c442, v187
	s_delay_alu instid0(VALU_DEP_4) | instskip(NEXT) | instid1(VALU_DEP_4)
	v_add_f32_e32 v40, v54, v40
	v_add_f32_e32 v38, v57, v38
	v_add_f32_e32 v57, v9, v35
	v_mul_f32_e32 v101, 0x3f06c442, v186
	v_add_f32_e32 v41, v55, v41
	v_fmamk_f32 v55, v56, 0xbf59a7d5, v94
	v_mul_f32_e32 v177, 0xbf06c442, v199
	v_fma_f32 v54, 0xbe8c1d8e, v57, -v76
	v_fma_f32 v58, 0x3f3d2fb0, v57, -v123
	s_delay_alu instid0(VALU_DEP_2) | instskip(SKIP_1) | instid1(VALU_DEP_3)
	v_dual_add_f32 v22, v55, v22 :: v_dual_add_f32 v21, v54, v21
	v_fma_f32 v54, 0xbf59a7d5, v57, -v101
	v_add_f32_e32 v39, v58, v39
	v_dual_add_f32 v58, v14, v24 :: v_dual_add_f32 v59, v15, v25
	s_delay_alu instid0(VALU_DEP_3) | instskip(NEXT) | instid1(VALU_DEP_1)
	v_dual_add_f32 v23, v54, v23 :: v_dual_fmamk_f32 v54, v56, 0x3ee437d1, v173
	v_add_f32_e32 v40, v54, v40
	s_delay_alu instid0(VALU_DEP_3) | instskip(SKIP_3) | instid1(VALU_DEP_4)
	v_fmamk_f32 v54, v58, 0xbf1a4643, v78
	v_fmamk_f32 v55, v56, 0x3f3d2fb0, v108
	v_fma_f32 v61, 0xbe8c1d8e, v59, -v106
	v_fmamk_f32 v60, v58, 0xbe8c1d8e, v102
	v_add_f32_e32 v20, v54, v20
	s_delay_alu instid0(VALU_DEP_4) | instskip(SKIP_4) | instid1(VALU_DEP_4)
	v_add_f32_e32 v38, v55, v38
	v_fma_f32 v55, 0x3ee437d1, v57, -v182
	v_add_f32_e32 v23, v61, v23
	v_fma_f32 v61, 0xbf59a7d5, v59, -v191
	v_add_f32_e32 v22, v60, v22
	v_dual_add_f32 v60, v12, v26 :: v_dual_add_f32 v41, v55, v41
	v_fma_f32 v55, 0xbf1a4643, v59, -v81
	s_delay_alu instid0(VALU_DEP_2) | instskip(NEXT) | instid1(VALU_DEP_1)
	v_dual_mul_f32 v122, 0xbeb8f4ab, v188 :: v_dual_add_f32 v41, v61, v41
	v_dual_add_f32 v21, v55, v21 :: v_dual_fmamk_f32 v54, v58, 0x3f6eb680, v122
	v_fmamk_f32 v55, v58, 0xbf59a7d5, v189
	v_dual_add_f32 v61, v13, v27 :: v_dual_mul_f32 v96, 0xbe3c28d5, v198
	s_delay_alu instid0(VALU_DEP_3) | instskip(SKIP_3) | instid1(VALU_DEP_3)
	v_add_f32_e32 v38, v54, v38
	v_fma_f32 v54, 0x3f6eb680, v59, -v163
	v_mul_f32_e32 v82, 0xbf06c442, v196
	v_sub_f32_e32 v197, v26, v12
	v_dual_add_f32 v40, v55, v40 :: v_dual_add_f32 v39, v54, v39
	s_delay_alu instid0(VALU_DEP_3) | instskip(NEXT) | instid1(VALU_DEP_3)
	v_fmamk_f32 v54, v60, 0xbf59a7d5, v82
	v_mul_f32_e32 v95, 0xbf06c442, v197
	v_mul_f32_e32 v114, 0x3f65296c, v197
	v_dual_mul_f32 v160, 0xbf7ee86f, v196 :: v_dual_mul_f32 v175, 0xbf7ee86f, v197
	s_delay_alu instid0(VALU_DEP_4) | instskip(NEXT) | instid1(VALU_DEP_4)
	v_add_f32_e32 v20, v54, v20
	v_fma_f32 v54, 0xbf59a7d5, v61, -v95
	v_mul_f32_e32 v104, 0x3f65296c, v196
	v_fma_f32 v63, 0x3ee437d1, v61, -v114
	v_fma_f32 v85, 0x3dbcf732, v61, -v175
	s_delay_alu instid0(VALU_DEP_4) | instskip(NEXT) | instid1(VALU_DEP_4)
	v_dual_fmamk_f32 v64, v60, 0x3dbcf732, v160 :: v_dual_add_f32 v21, v54, v21
	v_fmamk_f32 v55, v60, 0x3ee437d1, v104
	s_delay_alu instid0(VALU_DEP_4) | instskip(SKIP_1) | instid1(VALU_DEP_4)
	v_add_f32_e32 v23, v63, v23
	v_add_f32_e32 v63, v18, v16
	v_dual_add_f32 v39, v85, v39 :: v_dual_add_f32 v38, v64, v38
	s_delay_alu instid0(VALU_DEP_4) | instskip(SKIP_1) | instid1(VALU_DEP_4)
	v_add_f32_e32 v22, v55, v22
	v_add_f32_e32 v64, v19, v17
	v_fmamk_f32 v85, v63, 0xbf7ba420, v96
	v_mul_f32_e32 v192, 0x3f4c4adb, v197
	v_fmamk_f32 v54, v60, 0xbf1a4643, v190
	v_mul_f32_e32 v164, 0xbf06c442, v198
	v_fma_f32 v110, 0x3f3d2fb0, v64, -v194
	v_add_f32_e32 v85, v85, v20
	v_fma_f32 v55, 0xbf1a4643, v61, -v192
	v_add_f32_e32 v40, v54, v40
	v_fma_f32 v20, 0x3f6eb680, v64, -v147
	v_fmamk_f32 v54, v63, 0x3f6eb680, v107
	s_delay_alu instid0(VALU_DEP_4) | instskip(NEXT) | instid1(VALU_DEP_2)
	v_dual_add_f32 v41, v55, v41 :: v_dual_mul_f32 v100, 0xbe3c28d5, v199
	v_dual_add_f32 v23, v20, v23 :: v_dual_add_f32 v22, v54, v22
	v_fma_f32 v54, 0xbf59a7d5, v64, -v177
	s_delay_alu instid0(VALU_DEP_3) | instskip(NEXT) | instid1(VALU_DEP_1)
	v_fma_f32 v86, 0xbf7ba420, v64, -v100
	v_dual_add_f32 v86, v86, v21 :: v_dual_fmamk_f32 v21, v63, 0xbf59a7d5, v164
	s_delay_alu instid0(VALU_DEP_1) | instskip(NEXT) | instid1(VALU_DEP_1)
	v_dual_fmamk_f32 v55, v63, 0x3f3d2fb0, v193 :: v_dual_add_f32 v20, v21, v38
	v_dual_add_f32 v21, v54, v39 :: v_dual_add_f32 v54, v55, v40
	v_add_f32_e32 v55, v110, v41
	s_and_saveexec_b32 s0, vcc_lo
	s_cbranch_execz .LBB0_7
; %bb.6:
	v_dual_mul_f32 v141, 0xbe3c28d5, v124 :: v_dual_mul_f32 v126, 0xbe3c28d5, v43
	v_dual_mul_f32 v136, 0x3eb8f4ab, v146 :: v_dual_mul_f32 v125, 0x3eb8f4ab, v133
	v_mul_f32_e32 v116, 0xbf06c442, v167
	v_mul_f32_e32 v117, 0x3f2c7751, v180
	s_delay_alu instid0(VALU_DEP_4)
	v_fma_f32 v41, 0xbf7ba420, v46, -v126
	v_mul_f32_e32 v128, 0x3f2c7751, v181
	v_fma_f32 v111, 0x3f6eb680, v48, -v125
	v_fma_f32 v112, 0xbf59a7d5, v50, -v116
	;; [unrolled: 1-line block ×3, first 2 shown]
	v_dual_add_f32 v41, v41, v0 :: v_dual_mul_f32 v120, 0x3f65296c, v195
	v_mul_f32_e32 v121, 0xbf4c4adb, v186
	v_dual_mul_f32 v148, 0xbf06c442, v124 :: v_dual_mul_f32 v153, 0xbf06c442, v43
	s_delay_alu instid0(VALU_DEP_3)
	v_add_f32_e32 v41, v111, v41
	v_fmamk_f32 v38, v47, 0xbf7ba420, v141
	v_mul_f32_e32 v111, 0xbf4c4adb, v187
	v_mul_f32_e32 v162, 0x3f763a35, v146
	;; [unrolled: 1-line block ×3, first 2 shown]
	v_add_f32_e32 v41, v112, v41
	v_dual_mul_f32 v131, 0xbf06c442, v168 :: v_dual_add_f32 v38, v38, v1
	v_mul_f32_e32 v110, 0x3f7ee86f, v199
	v_fma_f32 v118, 0xbf1a4643, v56, -v111
	s_delay_alu instid0(VALU_DEP_3) | instskip(SKIP_3) | instid1(VALU_DEP_4)
	v_dual_add_f32 v41, v113, v41 :: v_dual_fmamk_f32 v40, v51, 0xbf59a7d5, v131
	v_mul_f32_e32 v112, 0x3f65296c, v188
	v_mul_f32_e32 v172, 0xbf2c7751, v195
	v_fmamk_f32 v139, v49, 0xbe8c1d8e, v162
	v_add_f32_e32 v41, v118, v41
	v_fmamk_f32 v39, v49, 0x3f6eb680, v136
	v_mul_f32_e32 v115, 0xbf763a35, v197
	v_fmamk_f32 v118, v64, 0x3dbcf732, v110
	v_fmamk_f32 v183, v59, 0x3f3d2fb0, v172
	v_mul_f32_e32 v154, 0x3f65296c, v133
	v_add_f32_e32 v38, v39, v38
	v_dual_mul_f32 v132, 0xbf7ee86f, v168 :: v_dual_mul_f32 v155, 0xbf7ee86f, v167
	v_mul_f32_e32 v142, 0xbf763a35, v199
	v_mul_f32_e32 v138, 0x3f4c4adb, v180
	s_delay_alu instid0(VALU_DEP_4)
	v_add_f32_e32 v38, v40, v38
	v_fmamk_f32 v40, v57, 0xbf1a4643, v121
	v_fmamk_f32 v39, v53, 0x3f3d2fb0, v128
	;; [unrolled: 1-line block ×3, first 2 shown]
	v_mul_f32_e32 v150, 0x3f4c4adb, v181
	v_mul_f32_e32 v140, 0xbeb8f4ab, v187
	;; [unrolled: 1-line block ×3, first 2 shown]
	v_add_f32_e32 v38, v39, v38
	v_mul_f32_e32 v144, 0xbe3c28d5, v188
	v_mul_f32_e32 v166, 0x3f763a35, v133
	;; [unrolled: 1-line block ×4, first 2 shown]
	v_add_f32_e32 v38, v40, v38
	v_fmamk_f32 v40, v61, 0xbe8c1d8e, v115
	v_fmamk_f32 v39, v59, 0x3ee437d1, v120
	v_fmac_f32_e32 v125, 0x3f6eb680, v48
	v_mul_f32_e32 v161, 0xbf4c4adb, v124
	v_mul_f32_e32 v151, 0xbeb8f4ab, v186
	v_fmamk_f32 v156, v51, 0x3f6eb680, v174
	v_add_f32_e32 v38, v39, v38
	v_fma_f32 v39, 0x3ee437d1, v58, -v112
	v_fmac_f32_e32 v111, 0xbf1a4643, v56
	v_mul_f32_e32 v137, 0x3f2c7751, v197
	s_delay_alu instid0(VALU_DEP_4) | instskip(NEXT) | instid1(VALU_DEP_4)
	v_dual_mul_f32 v165, 0xbf4c4adb, v43 :: v_dual_add_f32 v38, v40, v38
	v_add_f32_e32 v41, v39, v41
	v_mul_f32_e32 v113, 0xbf763a35, v196
	v_mul_f32_e32 v171, 0x3f7ee86f, v186
	s_delay_alu instid0(VALU_DEP_4)
	v_fma_f32 v145, 0xbf1a4643, v46, -v165
	v_add_f32_e32 v39, v118, v38
	v_mul_f32_e32 v118, 0x3f7ee86f, v198
	v_fma_f32 v129, 0xbe8c1d8e, v60, -v113
	v_mul_f32_e32 v186, 0xbe3c28d5, v186
	v_dual_fmac_f32 v165, 0xbf1a4643, v46 :: v_dual_add_f32 v2, v2, v0
	s_delay_alu instid0(VALU_DEP_4) | instskip(NEXT) | instid1(VALU_DEP_4)
	v_fma_f32 v134, 0x3dbcf732, v63, -v118
	v_add_f32_e32 v38, v129, v41
	v_fma_f32 v129, 0xbf59a7d5, v46, -v153
	v_fmamk_f32 v40, v47, 0xbf59a7d5, v148
	v_fmamk_f32 v41, v51, 0x3dbcf732, v132
	s_delay_alu instid0(VALU_DEP_4) | instskip(NEXT) | instid1(VALU_DEP_4)
	v_dual_fmamk_f32 v203, v57, 0xbf7ba420, v186 :: v_dual_add_f32 v38, v134, v38
	v_dual_fmamk_f32 v134, v47, 0xbf1a4643, v161 :: v_dual_add_f32 v129, v129, v0
	s_delay_alu instid0(VALU_DEP_4) | instskip(NEXT) | instid1(VALU_DEP_2)
	v_dual_add_f32 v40, v40, v1 :: v_dual_mul_f32 v135, 0x3f2c7751, v196
	v_dual_fmac_f32 v113, 0xbe8c1d8e, v60 :: v_dual_add_f32 v134, v134, v1
	v_fmamk_f32 v130, v49, 0x3ee437d1, v149
	v_add_f32_e32 v28, v28, v2
	v_fmac_f32_e32 v126, 0xbf7ba420, v46
	v_fmac_f32_e32 v116, 0xbf59a7d5, v50
	;; [unrolled: 1-line block ×3, first 2 shown]
	v_add_f32_e32 v40, v130, v40
	v_fma_f32 v130, 0x3ee437d1, v48, -v154
	v_add_f32_e32 v28, v30, v28
	s_delay_alu instid0(VALU_DEP_2) | instskip(SKIP_1) | instid1(VALU_DEP_3)
	v_dual_add_f32 v40, v41, v40 :: v_dual_add_f32 v129, v130, v129
	v_fma_f32 v130, 0x3dbcf732, v50, -v155
	v_dual_fmamk_f32 v41, v53, 0xbf1a4643, v150 :: v_dual_add_f32 v28, v32, v28
	v_fmac_f32_e32 v155, 0x3dbcf732, v50
	s_delay_alu instid0(VALU_DEP_3) | instskip(SKIP_1) | instid1(VALU_DEP_4)
	v_add_f32_e32 v129, v130, v129
	v_fma_f32 v130, 0xbf1a4643, v52, -v138
	v_add_f32_e32 v28, v34, v28
	s_delay_alu instid0(VALU_DEP_2)
	v_add_f32_e32 v129, v130, v129
	v_fma_f32 v130, 0x3f6eb680, v56, -v140
	v_mul_f32_e32 v152, 0xbe3c28d5, v195
	v_add_f32_e32 v40, v41, v40
	v_fmamk_f32 v41, v57, 0x3f6eb680, v151
	v_fmac_f32_e32 v118, 0x3dbcf732, v63
	v_add_f32_e32 v24, v24, v28
	s_delay_alu instid0(VALU_DEP_3) | instskip(NEXT) | instid1(VALU_DEP_2)
	v_dual_add_f32 v40, v41, v40 :: v_dual_fmamk_f32 v41, v59, 0xbf7ba420, v152
	v_add_f32_e32 v24, v26, v24
	s_delay_alu instid0(VALU_DEP_2) | instskip(SKIP_1) | instid1(VALU_DEP_1)
	v_add_f32_e32 v40, v41, v40
	v_fmamk_f32 v41, v61, 0x3f3d2fb0, v137
	v_dual_add_f32 v40, v41, v40 :: v_dual_add_f32 v41, v130, v129
	v_fma_f32 v129, 0xbf7ba420, v58, -v144
	s_delay_alu instid0(VALU_DEP_1) | instskip(SKIP_2) | instid1(VALU_DEP_2)
	v_add_f32_e32 v41, v129, v41
	v_fma_f32 v129, 0x3f3d2fb0, v60, -v135
	v_fmac_f32_e32 v138, 0xbf1a4643, v52
	v_dual_fmac_f32 v135, 0x3f3d2fb0, v60 :: v_dual_add_f32 v176, v129, v41
	v_dual_add_f32 v129, v139, v134 :: v_dual_add_f32 v134, v145, v0
	v_fma_f32 v139, 0xbe8c1d8e, v48, -v166
	v_add_f32_e32 v41, v143, v40
	v_mul_f32_e32 v145, 0xbf06c442, v180
	s_delay_alu instid0(VALU_DEP_4)
	v_add_f32_e32 v129, v156, v129
	v_mul_f32_e32 v156, 0xbe3c28d5, v197
	v_add_f32_e32 v40, v139, v134
	v_fma_f32 v134, 0x3f6eb680, v50, -v158
	v_mul_f32_e32 v139, 0x3f7ee86f, v187
	v_mul_f32_e32 v180, 0xbf65296c, v180
	v_fmac_f32_e32 v140, 0x3f6eb680, v56
	s_delay_alu instid0(VALU_DEP_4) | instskip(SKIP_4) | instid1(VALU_DEP_4)
	v_add_f32_e32 v40, v134, v40
	v_fma_f32 v134, 0xbf59a7d5, v52, -v145
	v_fma_f32 v179, 0x3dbcf732, v56, -v139
	v_fmac_f32_e32 v145, 0xbf59a7d5, v52
	v_fmac_f32_e32 v139, 0x3dbcf732, v56
	v_dual_add_f32 v40, v134, v40 :: v_dual_fmamk_f32 v143, v53, 0xbf59a7d5, v170
	v_mul_f32_e32 v134, 0xbf2c7751, v188
	s_delay_alu instid0(VALU_DEP_2) | instskip(NEXT) | instid1(VALU_DEP_3)
	v_add_f32_e32 v40, v179, v40
	v_add_f32_e32 v129, v143, v129
	v_fmamk_f32 v143, v57, 0x3dbcf732, v171
	s_delay_alu instid0(VALU_DEP_4) | instskip(NEXT) | instid1(VALU_DEP_2)
	v_fma_f32 v179, 0x3f3d2fb0, v58, -v134
	v_dual_fmac_f32 v144, 0xbf7ba420, v58 :: v_dual_add_f32 v143, v143, v129
	v_mul_f32_e32 v129, 0xbe3c28d5, v196
	s_delay_alu instid0(VALU_DEP_3) | instskip(NEXT) | instid1(VALU_DEP_2)
	v_dual_add_f32 v179, v179, v40 :: v_dual_fmamk_f32 v184, v61, 0xbf7ba420, v156
	v_fma_f32 v185, 0xbf7ba420, v60, -v129
	s_delay_alu instid0(VALU_DEP_1) | instskip(SKIP_2) | instid1(VALU_DEP_2)
	v_dual_fmac_f32 v129, 0xbf7ba420, v60 :: v_dual_add_f32 v200, v185, v179
	v_add_f32_e32 v183, v183, v143
	v_mul_f32_e32 v143, 0x3f65296c, v199
	v_dual_fmac_f32 v154, 0x3ee437d1, v48 :: v_dual_add_f32 v183, v184, v183
	s_delay_alu instid0(VALU_DEP_2) | instskip(SKIP_1) | instid1(VALU_DEP_1)
	v_fmamk_f32 v184, v64, 0x3ee437d1, v143
	v_mul_f32_e32 v130, 0xbf763a35, v198
	v_fma_f32 v178, 0xbe8c1d8e, v63, -v130
	s_delay_alu instid0(VALU_DEP_1)
	v_add_f32_e32 v40, v178, v176
	v_mul_f32_e32 v178, 0xbf763a35, v43
	v_add_f32_e32 v43, v184, v183
	v_mul_f32_e32 v183, 0x3f06c442, v146
	v_mul_f32_e32 v176, 0xbf763a35, v124
	;; [unrolled: 1-line block ×3, first 2 shown]
	v_fma_f32 v146, 0xbe8c1d8e, v46, -v178
	v_fmac_f32_e32 v130, 0xbe8c1d8e, v63
	s_delay_alu instid0(VALU_DEP_4) | instskip(NEXT) | instid1(VALU_DEP_4)
	v_fmamk_f32 v184, v47, 0xbe8c1d8e, v176
	v_fma_f32 v201, 0x3ee437d1, v63, -v124
	s_delay_alu instid0(VALU_DEP_4) | instskip(NEXT) | instid1(VALU_DEP_3)
	v_dual_add_f32 v146, v146, v0 :: v_dual_mul_f32 v179, 0x3f06c442, v133
	v_dual_fmac_f32 v124, 0x3ee437d1, v63 :: v_dual_add_f32 v133, v184, v1
	v_mul_f32_e32 v184, 0x3f2c7751, v168
	v_mul_f32_e32 v168, 0x3f2c7751, v167
	s_delay_alu instid0(VALU_DEP_4) | instskip(NEXT) | instid1(VALU_DEP_1)
	v_fma_f32 v202, 0xbf59a7d5, v48, -v179
	v_add_f32_e32 v146, v202, v146
	v_fma_f32 v202, 0x3ee437d1, v52, -v180
	v_fmamk_f32 v185, v49, 0xbf59a7d5, v183
	v_fmac_f32_e32 v179, 0xbf59a7d5, v48
	s_delay_alu instid0(VALU_DEP_2) | instskip(SKIP_4) | instid1(VALU_DEP_3)
	v_add_f32_e32 v133, v185, v133
	v_mul_f32_e32 v185, 0xbf65296c, v181
	v_fma_f32 v181, 0x3f3d2fb0, v50, -v168
	v_fmamk_f32 v167, v51, 0x3f3d2fb0, v184
	v_fmac_f32_e32 v158, 0x3f6eb680, v50
	v_dual_add_f32 v146, v181, v146 :: v_dual_mul_f32 v181, 0xbe3c28d5, v187
	v_mul_f32_e32 v187, 0x3f7ee86f, v195
	s_delay_alu instid0(VALU_DEP_2) | instskip(NEXT) | instid1(VALU_DEP_3)
	v_dual_add_f32 v133, v167, v133 :: v_dual_add_f32 v146, v202, v146
	v_fma_f32 v195, 0xbf7ba420, v56, -v181
	v_fmac_f32_e32 v181, 0xbf7ba420, v56
	s_delay_alu instid0(VALU_DEP_2) | instskip(SKIP_2) | instid1(VALU_DEP_2)
	v_dual_add_f32 v195, v195, v146 :: v_dual_mul_f32 v146, 0xbeb8f4ab, v196
	v_mul_f32_e32 v196, 0x3dbcf732, v47
	v_fmac_f32_e32 v166, 0xbe8c1d8e, v48
	v_add_f32_e32 v196, v42, v196
	v_add_f32_e32 v42, v201, v200
	v_fmamk_f32 v202, v59, 0x3dbcf732, v187
	v_fmamk_f32 v167, v53, 0x3ee437d1, v185
	s_delay_alu instid0(VALU_DEP_4) | instskip(NEXT) | instid1(VALU_DEP_2)
	v_dual_mul_f32 v201, 0xbe8c1d8e, v51 :: v_dual_add_f32 v196, v196, v1
	v_add_f32_e32 v167, v167, v133
	v_mul_f32_e32 v133, 0x3f7ee86f, v188
	s_delay_alu instid0(VALU_DEP_3) | instskip(SKIP_1) | instid1(VALU_DEP_4)
	v_dual_add_f32 v157, v157, v201 :: v_dual_fmac_f32 v178, 0xbe8c1d8e, v46
	v_fmac_f32_e32 v134, 0x3f3d2fb0, v58
	v_dual_add_f32 v188, v203, v167 :: v_dual_mul_f32 v203, 0xbf7ba420, v49
	s_delay_alu instid0(VALU_DEP_1) | instskip(SKIP_3) | instid1(VALU_DEP_4)
	v_dual_add_f32 v188, v202, v188 :: v_dual_mul_f32 v167, 0xbeb8f4ab, v197
	v_fma_f32 v197, 0x3dbcf732, v58, -v133
	v_fmac_f32_e32 v133, 0x3dbcf732, v58
	v_fmac_f32_e32 v153, 0xbf59a7d5, v46
	v_fmamk_f32 v202, v61, 0x3f6eb680, v167
	s_delay_alu instid0(VALU_DEP_4) | instskip(SKIP_1) | instid1(VALU_DEP_1)
	v_add_f32_e32 v195, v197, v195
	v_fma_f32 v197, 0x3f6eb680, v60, -v146
	v_add_f32_e32 v195, v197, v195
	v_add_f32_e32 v197, v119, v203
	s_delay_alu instid0(VALU_DEP_1) | instskip(SKIP_3) | instid1(VALU_DEP_3)
	v_dual_mul_f32 v119, 0xbf4c4adb, v198 :: v_dual_add_f32 v196, v197, v196
	v_dual_mul_f32 v197, 0x3f6eb680, v53 :: v_dual_add_f32 v200, v202, v188
	v_mul_f32_e32 v188, 0xbf4c4adb, v199
	v_mul_f32_e32 v199, 0xbf7ba420, v48
	v_add_f32_e32 v169, v169, v197
	v_mul_f32_e32 v197, 0xbe8c1d8e, v50
	v_dual_mul_f32 v198, 0x3dbcf732, v46 :: v_dual_add_f32 v157, v157, v196
	s_delay_alu instid0(VALU_DEP_4) | instskip(NEXT) | instid1(VALU_DEP_3)
	v_sub_f32_e32 v196, v199, v45
	v_dual_fmac_f32 v168, 0x3f3d2fb0, v50 :: v_dual_sub_f32 v127, v197, v127
	s_delay_alu instid0(VALU_DEP_3) | instskip(NEXT) | instid1(VALU_DEP_4)
	v_dual_sub_f32 v44, v198, v44 :: v_dual_mul_f32 v197, 0xbf59a7d5, v59
	v_add_f32_e32 v157, v169, v157
	v_mul_f32_e32 v169, 0x3f6eb680, v52
	v_fmamk_f32 v198, v64, 0xbf1a4643, v188
	v_fmac_f32_e32 v180, 0x3ee437d1, v52
	s_delay_alu instid0(VALU_DEP_3) | instskip(NEXT) | instid1(VALU_DEP_3)
	v_dual_fmac_f32 v146, 0x3f6eb680, v60 :: v_dual_sub_f32 v159, v169, v159
	v_dual_add_f32 v45, v198, v200 :: v_dual_mul_f32 v198, 0x3ee437d1, v57
	s_delay_alu instid0(VALU_DEP_1) | instskip(NEXT) | instid1(VALU_DEP_1)
	v_dual_mul_f32 v169, 0x3ee437d1, v56 :: v_dual_add_f32 v182, v182, v198
	v_dual_add_f32 v44, v44, v0 :: v_dual_sub_f32 v169, v169, v173
	v_mul_f32_e32 v173, 0x3ee437d1, v47
	s_delay_alu instid0(VALU_DEP_2) | instskip(SKIP_1) | instid1(VALU_DEP_3)
	v_dual_add_f32 v157, v182, v157 :: v_dual_add_f32 v44, v196, v44
	v_add_f32_e32 v182, v191, v197
	v_add_f32_e32 v92, v92, v173
	v_fma_f32 v196, 0xbf1a4643, v63, -v119
	v_fmac_f32_e32 v119, 0xbf1a4643, v63
	v_add_f32_e32 v127, v127, v44
	s_delay_alu instid0(VALU_DEP_4) | instskip(SKIP_1) | instid1(VALU_DEP_3)
	v_dual_fmac_f32 v117, 0x3f3d2fb0, v52 :: v_dual_add_f32 v92, v92, v1
	v_dual_add_f32 v157, v182, v157 :: v_dual_mul_f32 v182, 0xbf59a7d5, v58
	v_add_f32_e32 v127, v159, v127
	v_dual_add_f32 v44, v196, v195 :: v_dual_mul_f32 v159, 0xbf1a4643, v61
	s_delay_alu instid0(VALU_DEP_3) | instskip(NEXT) | instid1(VALU_DEP_3)
	v_sub_f32_e32 v173, v182, v189
	v_add_f32_e32 v127, v169, v127
	v_mul_f32_e32 v169, 0xbf1a4643, v49
	s_delay_alu instid0(VALU_DEP_2) | instskip(NEXT) | instid1(VALU_DEP_2)
	v_add_f32_e32 v127, v173, v127
	v_add_f32_e32 v99, v99, v169
	s_delay_alu instid0(VALU_DEP_1) | instskip(NEXT) | instid1(VALU_DEP_1)
	v_dual_mul_f32 v169, 0xbf7ba420, v51 :: v_dual_add_f32 v92, v99, v92
	v_add_f32_e32 v105, v105, v169
	v_add_f32_e32 v159, v192, v159
	s_delay_alu instid0(VALU_DEP_2) | instskip(NEXT) | instid1(VALU_DEP_2)
	v_dual_mul_f32 v99, 0x3f3d2fb0, v63 :: v_dual_add_f32 v92, v105, v92
	v_add_f32_e32 v157, v159, v157
	v_mul_f32_e32 v159, 0xbf1a4643, v60
	s_delay_alu instid0(VALU_DEP_3) | instskip(SKIP_1) | instid1(VALU_DEP_3)
	v_sub_f32_e32 v99, v99, v193
	v_mul_f32_e32 v173, 0x3f3d2fb0, v64
	v_sub_f32_e32 v159, v159, v190
	s_delay_alu instid0(VALU_DEP_2) | instskip(SKIP_1) | instid1(VALU_DEP_3)
	v_add_f32_e32 v169, v194, v173
	v_mul_f32_e32 v173, 0xbe8c1d8e, v53
	v_add_f32_e32 v127, v159, v127
	v_mul_f32_e32 v159, 0x3ee437d1, v46
	s_delay_alu instid0(VALU_DEP_3) | instskip(SKIP_1) | instid1(VALU_DEP_4)
	v_add_f32_e32 v109, v109, v173
	v_mul_f32_e32 v173, 0xbf59a7d5, v61
	v_add_f32_e32 v189, v99, v127
	v_mul_f32_e32 v127, 0x3f3d2fb0, v57
	s_delay_alu instid0(VALU_DEP_4) | instskip(NEXT) | instid1(VALU_DEP_4)
	v_dual_sub_f32 v79, v159, v79 :: v_dual_add_f32 v92, v109, v92
	v_add_f32_e32 v28, v95, v173
	s_delay_alu instid0(VALU_DEP_3) | instskip(SKIP_1) | instid1(VALU_DEP_4)
	v_add_f32_e32 v123, v123, v127
	v_mul_f32_e32 v127, 0x3f6eb680, v59
	v_add_f32_e32 v79, v79, v0
	s_delay_alu instid0(VALU_DEP_3) | instskip(NEXT) | instid1(VALU_DEP_3)
	v_add_f32_e32 v92, v123, v92
	v_add_f32_e32 v127, v163, v127
	v_mul_f32_e32 v163, 0x3dbcf732, v48
	s_delay_alu instid0(VALU_DEP_2) | instskip(NEXT) | instid1(VALU_DEP_2)
	v_dual_mul_f32 v123, 0xbf7ba420, v50 :: v_dual_add_f32 v92, v127, v92
	v_dual_sub_f32 v74, v163, v74 :: v_dual_mul_f32 v109, 0xbf1a4643, v48
	s_delay_alu instid0(VALU_DEP_2) | instskip(SKIP_1) | instid1(VALU_DEP_3)
	v_sub_f32_e32 v98, v123, v98
	v_mul_f32_e32 v163, 0xbe8c1d8e, v58
	v_sub_f32_e32 v93, v109, v93
	v_mul_f32_e32 v109, 0x3f3d2fb0, v47
	s_delay_alu instid0(VALU_DEP_2) | instskip(SKIP_1) | instid1(VALU_DEP_3)
	v_add_f32_e32 v79, v93, v79
	v_mul_f32_e32 v93, 0x3dbcf732, v61
	v_add_f32_e32 v73, v73, v109
	s_delay_alu instid0(VALU_DEP_3) | instskip(NEXT) | instid1(VALU_DEP_3)
	v_add_f32_e32 v79, v98, v79
	v_add_f32_e32 v93, v175, v93
	s_delay_alu instid0(VALU_DEP_3) | instskip(NEXT) | instid1(VALU_DEP_2)
	v_add_f32_e32 v73, v73, v1
	v_add_f32_e32 v92, v93, v92
	v_mul_f32_e32 v93, 0x3f3d2fb0, v56
	s_delay_alu instid0(VALU_DEP_1) | instskip(SKIP_1) | instid1(VALU_DEP_2)
	v_dual_sub_f32 v93, v93, v108 :: v_dual_mul_f32 v108, 0x3f6eb680, v58
	v_dual_add_f32 v190, v169, v157 :: v_dual_mul_f32 v157, 0x3f3d2fb0, v46
	v_dual_mul_f32 v99, 0x3f6eb680, v47 :: v_dual_sub_f32 v108, v108, v122
	v_mul_f32_e32 v122, 0x3dbcf732, v53
	s_delay_alu instid0(VALU_DEP_3) | instskip(NEXT) | instid1(VALU_DEP_3)
	v_dual_sub_f32 v70, v157, v70 :: v_dual_mul_f32 v123, 0xbe8c1d8e, v52
	v_dual_add_f32 v66, v66, v99 :: v_dual_add_f32 v99, v3, v1
	s_delay_alu instid0(VALU_DEP_2) | instskip(NEXT) | instid1(VALU_DEP_3)
	v_dual_mul_f32 v157, 0xbf1a4643, v59 :: v_dual_add_f32 v70, v70, v0
	v_dual_sub_f32 v98, v123, v103 :: v_dual_mul_f32 v123, 0x3ee437d1, v50
	s_delay_alu instid0(VALU_DEP_3) | instskip(SKIP_1) | instid1(VALU_DEP_3)
	v_dual_add_f32 v66, v66, v1 :: v_dual_add_f32 v29, v29, v99
	v_mul_f32_e32 v103, 0x3dbcf732, v49
	v_add_f32_e32 v79, v98, v79
	v_add_f32_e32 v70, v74, v70
	s_delay_alu instid0(VALU_DEP_4) | instskip(NEXT) | instid1(VALU_DEP_4)
	v_dual_mul_f32 v98, 0x3ee437d1, v51 :: v_dual_add_f32 v29, v31, v29
	v_add_f32_e32 v80, v80, v103
	v_mul_f32_e32 v103, 0xbf1a4643, v51
	s_delay_alu instid0(VALU_DEP_3) | instskip(NEXT) | instid1(VALU_DEP_4)
	v_dual_add_f32 v79, v93, v79 :: v_dual_add_f32 v68, v68, v98
	v_add_f32_e32 v29, v33, v29
	s_delay_alu instid0(VALU_DEP_4) | instskip(NEXT) | instid1(VALU_DEP_4)
	v_dual_add_f32 v73, v80, v73 :: v_dual_mul_f32 v80, 0x3dbcf732, v60
	v_add_f32_e32 v83, v83, v103
	s_delay_alu instid0(VALU_DEP_4) | instskip(NEXT) | instid1(VALU_DEP_4)
	v_add_f32_e32 v79, v108, v79
	v_add_f32_e32 v29, v35, v29
	v_mul_f32_e32 v108, 0xbf7ba420, v53
	v_sub_f32_e32 v80, v80, v160
	v_mul_f32_e32 v160, 0xbf59a7d5, v64
	v_mul_f32_e32 v105, 0x3f6eb680, v46
	v_add_f32_e32 v25, v25, v29
	v_add_f32_e32 v97, v97, v108
	s_delay_alu instid0(VALU_DEP_4) | instskip(NEXT) | instid1(VALU_DEP_4)
	v_dual_add_f32 v79, v80, v79 :: v_dual_add_f32 v160, v177, v160
	v_dual_mul_f32 v93, 0x3dbcf732, v52 :: v_dual_sub_f32 v30, v105, v62
	s_delay_alu instid0(VALU_DEP_4) | instskip(SKIP_3) | instid1(VALU_DEP_4)
	v_add_f32_e32 v25, v27, v25
	v_mul_f32_e32 v80, 0xbf59a7d5, v57
	v_mul_f32_e32 v103, 0xbf7ba420, v52
	;; [unrolled: 1-line block ×3, first 2 shown]
	v_dual_add_f32 v30, v30, v0 :: v_dual_add_f32 v17, v17, v25
	s_delay_alu instid0(VALU_DEP_4) | instskip(SKIP_2) | instid1(VALU_DEP_4)
	v_dual_add_f32 v73, v83, v73 :: v_dual_add_f32 v80, v101, v80
	v_sub_f32_e32 v25, v93, v71
	v_mul_f32_e32 v169, 0xbf59a7d5, v56
	v_add_f32_e32 v17, v19, v17
	v_add_f32_e32 v19, v16, v24
	;; [unrolled: 1-line block ×4, first 2 shown]
	v_mul_f32_e32 v83, 0xbe8c1d8e, v56
	v_add_f32_e32 v13, v13, v17
	v_add_f32_e32 v17, v18, v19
	v_fma_f32 v18, 0xbf7ba420, v47, -v141
	v_mul_f32_e32 v97, 0xbf1a4643, v58
	s_delay_alu instid0(VALU_DEP_4) | instskip(NEXT) | instid1(VALU_DEP_4)
	v_add_f32_e32 v13, v15, v13
	v_dual_add_f32 v12, v12, v17 :: v_dual_mul_f32 v101, 0xbe8c1d8e, v59
	s_delay_alu instid0(VALU_DEP_4) | instskip(SKIP_1) | instid1(VALU_DEP_4)
	v_add_f32_e32 v15, v18, v1
	v_fma_f32 v17, 0x3f6eb680, v49, -v136
	v_add_f32_e32 v9, v9, v13
	s_delay_alu instid0(VALU_DEP_4) | instskip(SKIP_1) | instid1(VALU_DEP_4)
	v_dual_add_f32 v73, v80, v73 :: v_dual_add_f32 v12, v14, v12
	v_add_f32_e32 v101, v106, v101
	v_add_f32_e32 v13, v17, v15
	v_fma_f32 v14, 0xbf59a7d5, v51, -v131
	s_delay_alu instid0(VALU_DEP_4) | instskip(NEXT) | instid1(VALU_DEP_4)
	v_dual_add_f32 v9, v11, v9 :: v_dual_add_f32 v8, v8, v12
	v_add_f32_e32 v101, v101, v73
	v_sub_f32_e32 v73, v103, v91
	v_mul_f32_e32 v91, 0x3f6eb680, v63
	v_mul_f32_e32 v109, 0xbf1a4643, v50
	v_add_f32_e32 v11, v14, v13
	v_fma_f32 v12, 0x3f3d2fb0, v53, -v128
	v_dual_add_f32 v5, v5, v9 :: v_dual_add_f32 v8, v10, v8
	s_delay_alu instid0(VALU_DEP_4) | instskip(SKIP_1) | instid1(VALU_DEP_4)
	v_sub_f32_e32 v74, v109, v77
	v_fma_f32 v10, 0xbf1a4643, v57, -v121
	v_add_f32_e32 v9, v12, v11
	s_delay_alu instid0(VALU_DEP_4)
	v_add_f32_e32 v5, v7, v5
	v_add_f32_e32 v7, v126, v0
	v_mul_f32_e32 v77, 0x3ee437d1, v60
	v_dual_mul_f32 v109, 0x3ee437d1, v61 :: v_dual_add_f32 v4, v4, v8
	v_add_f32_e32 v70, v74, v70
	v_add_f32_e32 v8, v10, v9
	v_fma_f32 v9, 0x3ee437d1, v59, -v120
	v_add_f32_e32 v7, v125, v7
	s_delay_alu instid0(VALU_DEP_4)
	v_dual_mul_f32 v159, 0x3f3d2fb0, v48 :: v_dual_add_f32 v70, v73, v70
	v_dual_mul_f32 v106, 0xbf59a7d5, v63 :: v_dual_add_f32 v103, v114, v109
	v_add_f32_e32 v74, v160, v92
	v_dual_sub_f32 v92, v169, v94 :: v_dual_mul_f32 v127, 0x3f3d2fb0, v49
	v_add_f32_e32 v4, v6, v4
	v_add_f32_e32 v6, v9, v8
	v_fma_f32 v8, 0xbe8c1d8e, v61, -v115
	s_delay_alu instid0(VALU_DEP_4) | instskip(SKIP_2) | instid1(VALU_DEP_4)
	v_add_f32_e32 v70, v92, v70
	v_fma_f32 v9, 0xbf59a7d5, v47, -v148
	v_dual_add_f32 v7, v116, v7 :: v_dual_sub_f32 v106, v106, v164
	v_dual_mul_f32 v175, 0xbf7ba420, v64 :: v_dual_add_f32 v6, v8, v6
	s_delay_alu instid0(VALU_DEP_3) | instskip(SKIP_4) | instid1(VALU_DEP_3)
	v_dual_mul_f32 v109, 0x3f6eb680, v64 :: v_dual_add_f32 v8, v9, v1
	v_add_f32_e32 v69, v69, v127
	v_fma_f32 v9, 0x3ee437d1, v49, -v149
	v_add_f32_e32 v7, v117, v7
	v_dual_add_f32 v73, v106, v79 :: v_dual_add_f32 v4, v36, v4
	v_dual_add_f32 v79, v103, v101 :: v_dual_add_f32 v8, v9, v8
	v_add_f32_e32 v94, v147, v109
	v_add_f32_e32 v66, v69, v66
	v_fma_f32 v9, 0x3dbcf732, v51, -v132
	v_add_f32_e32 v7, v111, v7
	v_sub_f32_e32 v77, v77, v104
	v_add_f32_e32 v3, v94, v79
	v_fma_f32 v10, 0x3dbcf732, v64, -v110
	v_add_f32_e32 v8, v9, v8
	v_fma_f32 v9, 0xbf1a4643, v53, -v150
	v_add_f32_e32 v12, v112, v7
	v_add_f32_e32 v31, v68, v66
	;; [unrolled: 1-line block ×3, first 2 shown]
	v_sub_f32_e32 v32, v159, v65
	v_add_f32_e32 v8, v9, v8
	v_fma_f32 v9, 0x3f6eb680, v57, -v151
	v_dual_add_f32 v7, v10, v6 :: v_dual_add_f32 v6, v113, v12
	v_add_f32_e32 v31, v66, v31
	v_dual_add_f32 v29, v81, v157 :: v_dual_add_f32 v30, v32, v30
	v_sub_f32_e32 v32, v123, v67
	s_delay_alu instid0(VALU_DEP_4)
	v_add_f32_e32 v6, v118, v6
	v_add_f32_e32 v8, v9, v8
	;; [unrolled: 1-line block ×3, first 2 shown]
	v_fma_f32 v9, 0xbf7ba420, v59, -v152
	v_add_f32_e32 v11, v153, v0
	v_fma_f32 v12, 0xbe8c1d8e, v49, -v162
	v_add_f32_e32 v13, v165, v0
	v_add_f32_e32 v27, v29, v31
	;; [unrolled: 1-line block ×3, first 2 shown]
	v_fma_f32 v9, 0x3f3d2fb0, v61, -v137
	v_add_f32_e32 v29, v32, v30
	v_add_f32_e32 v11, v154, v11
	v_fma_f32 v14, 0x3dbcf732, v57, -v171
	v_mul_f32_e32 v80, 0xbf59a7d5, v60
	v_add_f32_e32 v8, v9, v8
	v_dual_add_f32 v24, v25, v29 :: v_dual_sub_f32 v25, v83, v75
	v_add_f32_e32 v10, v155, v11
	v_fma_f32 v11, 0xbf1a4643, v47, -v161
	v_add_f32_e32 v0, v178, v0
	s_delay_alu instid0(VALU_DEP_4) | instskip(SKIP_1) | instid1(VALU_DEP_4)
	v_dual_mul_f32 v164, 0xbf7ba420, v63 :: v_dual_add_f32 v19, v25, v24
	v_sub_f32_e32 v24, v97, v78
	v_dual_add_f32 v10, v138, v10 :: v_dual_add_f32 v11, v11, v1
	s_delay_alu instid0(VALU_DEP_4) | instskip(NEXT) | instid1(VALU_DEP_4)
	v_add_f32_e32 v0, v179, v0
	v_sub_f32_e32 v17, v164, v96
	s_delay_alu instid0(VALU_DEP_4)
	v_add_f32_e32 v18, v24, v19
	v_sub_f32_e32 v92, v163, v102
	v_add_f32_e32 v10, v140, v10
	v_add_f32_e32 v9, v12, v11
	v_fma_f32 v11, 0x3f6eb680, v51, -v174
	v_fma_f32 v12, 0xbe8c1d8e, v64, -v142
	v_add_f32_e32 v70, v92, v70
	v_add_f32_e32 v10, v144, v10
	s_delay_alu instid0(VALU_DEP_4) | instskip(SKIP_1) | instid1(VALU_DEP_4)
	v_dual_add_f32 v26, v28, v27 :: v_dual_add_f32 v9, v11, v9
	v_fma_f32 v11, 0xbf59a7d5, v53, -v170
	v_add_f32_e32 v69, v77, v70
	s_delay_alu instid0(VALU_DEP_4) | instskip(SKIP_1) | instid1(VALU_DEP_4)
	v_dual_add_f32 v10, v135, v10 :: v_dual_add_f32 v27, v100, v175
	v_sub_f32_e32 v19, v80, v82
	v_add_f32_e32 v11, v11, v9
	v_dual_add_f32 v9, v12, v8 :: v_dual_add_f32 v12, v166, v13
	s_delay_alu instid0(VALU_DEP_4) | instskip(SKIP_1) | instid1(VALU_DEP_4)
	v_add_f32_e32 v8, v130, v10
	v_fma_f32 v13, 0xbe8c1d8e, v47, -v176
	v_add_f32_e32 v10, v14, v11
	v_fma_f32 v11, 0x3f3d2fb0, v59, -v172
	v_dual_add_f32 v15, v19, v18 :: v_dual_add_f32 v0, v168, v0
	s_delay_alu instid0(VALU_DEP_4) | instskip(NEXT) | instid1(VALU_DEP_3)
	v_dual_add_f32 v1, v13, v1 :: v_dual_add_f32 v12, v158, v12
	v_add_f32_e32 v10, v11, v10
	v_fma_f32 v11, 0xbf59a7d5, v49, -v183
	s_delay_alu instid0(VALU_DEP_4)
	v_add_f32_e32 v0, v180, v0
	v_fma_f32 v13, 0xbf7ba420, v61, -v156
	v_add_f32_e32 v12, v145, v12
	v_fma_f32 v14, 0x3f6eb680, v61, -v167
	;; [unrolled: 2-line block ×3, first 2 shown]
	v_add_f32_e32 v0, v181, v0
	v_dual_add_f32 v12, v139, v12 :: v_dual_add_f32 v15, v17, v15
	v_add_f32_e32 v5, v37, v5
	s_delay_alu instid0(VALU_DEP_4) | instskip(SKIP_1) | instid1(VALU_DEP_4)
	v_add_f32_e32 v1, v11, v1
	v_fma_f32 v11, 0x3ee437d1, v53, -v185
	v_add_f32_e32 v12, v134, v12
	v_add_f32_e32 v0, v133, v0
	v_sub_f32_e32 v70, v91, v107
	v_add_f32_e32 v16, v27, v26
	v_add_f32_e32 v1, v11, v1
	v_fma_f32 v11, 0xbf7ba420, v57, -v186
	v_add_f32_e32 v10, v13, v10
	v_fma_f32 v13, 0x3ee437d1, v64, -v143
	;; [unrolled: 2-line block ×4, first 2 shown]
	v_add_f32_e32 v18, v146, v0
	v_add_f32_e32 v2, v70, v69
	s_delay_alu instid0(VALU_DEP_3) | instskip(SKIP_1) | instid1(VALU_DEP_1)
	v_dual_add_f32 v0, v124, v12 :: v_dual_add_f32 v1, v11, v1
	v_mul_lo_u16 v11, v88, 17
	v_dual_add_f32 v14, v14, v1 :: v_dual_and_b32 v11, 0xffff, v11
	v_add_f32_e32 v1, v13, v10
	v_add_f32_e32 v10, v119, v18
	s_delay_alu instid0(VALU_DEP_3) | instskip(NEXT) | instid1(VALU_DEP_4)
	v_add_lshl_u32 v19, v89, v11, 3
	v_add_f32_e32 v11, v17, v14
	ds_store_2addr_b64 v19, v[4:5], v[15:16] offset1:1
	ds_store_2addr_b64 v19, v[2:3], v[73:74] offset0:2 offset1:3
	ds_store_2addr_b64 v19, v[189:190], v[44:45] offset0:4 offset1:5
	;; [unrolled: 1-line block ×7, first 2 shown]
	ds_store_b64 v19, v[85:86] offset:128
.LBB0_7:
	s_wait_alu 0xfffe
	s_or_b32 exec_lo, exec_lo, s0
	v_and_b32_e32 v0, 0xff, v88
	s_load_b128 s[4:7], s[4:5], 0x0
	global_wb scope:SCOPE_SE
	s_wait_dscnt 0x0
	s_wait_kmcnt 0x0
	s_barrier_signal -1
	s_barrier_wait -1
	v_mul_lo_u16 v0, 0xf1, v0
	global_inv scope:SCOPE_SE
	v_add_lshl_u32 v91, v89, v88, 3
	v_cmp_gt_u16_e64 s0, 51, v88
	v_lshrrev_b16 v36, 12, v0
	s_delay_alu instid0(VALU_DEP_1) | instskip(SKIP_1) | instid1(VALU_DEP_2)
	v_mul_lo_u16 v0, v36, 17
	v_and_b32_e32 v36, 0xffff, v36
	v_sub_nc_u16 v0, v88, v0
	s_delay_alu instid0(VALU_DEP_2) | instskip(NEXT) | instid1(VALU_DEP_2)
	v_mul_u32_u24_e32 v36, 0xdd, v36
	v_and_b32_e32 v4, 0xff, v0
	s_delay_alu instid0(VALU_DEP_1) | instskip(NEXT) | instid1(VALU_DEP_1)
	v_mul_u32_u24_e32 v0, 12, v4
	v_lshlrev_b32_e32 v0, 3, v0
	s_clause 0x5
	global_load_b128 v[32:35], v0, s[2:3]
	global_load_b128 v[28:31], v0, s[2:3] offset:16
	global_load_b128 v[16:19], v0, s[2:3] offset:32
	;; [unrolled: 1-line block ×5, first 2 shown]
	ds_load_2addr_b64 v[44:47], v91 offset0:170 offset1:255
	v_add_nc_u32_e32 v5, 0x800, v91
	v_add_nc_u32_e32 v6, 0x1000, v91
	ds_load_2addr_b64 v[0:3], v91 offset1:85
	s_wait_loadcnt_dscnt 0x500
	v_mul_f32_e32 v49, v3, v33
	s_wait_loadcnt 0x4
	v_mul_f32_e32 v75, v46, v29
	v_mul_f32_e32 v52, v47, v29
	ds_load_2addr_b64 v[56:59], v5 offset0:84 offset1:169
	v_add_nc_u32_e32 v7, 0xc00, v91
	v_dual_mul_f32 v74, v44, v35 :: v_dual_mul_f32 v53, v2, v33
	v_mul_f32_e32 v51, v45, v35
	v_fma_f32 v93, v2, v32, -v49
	v_fma_f32 v95, v46, v28, -v52
	v_add_nc_u32_e32 v4, v36, v4
	v_fmac_f32_e32 v53, v3, v32
	v_fma_f32 v94, v44, v34, -v51
	v_fmac_f32_e32 v75, v47, v28
	s_wait_loadcnt_dscnt 0x300
	v_mul_f32_e32 v77, v59, v17
	v_mul_f32_e32 v48, v58, v17
	ds_load_2addr_b64 v[60:63], v7 offset0:126 offset1:211
	v_dual_fmac_f32 v74, v45, v34 :: v_dual_add_nc_u32 v5, 0x1800, v91
	v_mul_f32_e32 v76, v57, v31
	v_fma_f32 v51, v58, v16, -v77
	s_wait_loadcnt_dscnt 0x200
	v_mul_f32_e32 v79, v63, v9
	v_mul_f32_e32 v38, v62, v9
	ds_load_2addr_b64 v[64:67], v6 offset0:168 offset1:253
	ds_load_2addr_b64 v[68:71], v5 offset0:82 offset1:167
	ds_load_b64 v[72:73], v91 offset:8160
	v_mul_f32_e32 v37, v60, v19
	v_mul_f32_e32 v50, v56, v31
	;; [unrolled: 1-line block ×3, first 2 shown]
	v_fma_f32 v52, v56, v30, -v76
	v_fma_f32 v47, v62, v8, -v79
	v_dual_fmac_f32 v37, v61, v18 :: v_dual_fmac_f32 v38, v63, v8
	global_wb scope:SCOPE_SE
	s_wait_loadcnt_dscnt 0x0
	s_barrier_signal -1
	s_barrier_wait -1
	global_inv scope:SCOPE_SE
	v_dual_mul_f32 v80, v65, v11 :: v_dual_mul_f32 v83, v71, v13
	v_mul_f32_e32 v42, v72, v15
	v_dual_mul_f32 v82, v69, v27 :: v_dual_mul_f32 v41, v70, v13
	v_mul_f32_e32 v40, v68, v27
	v_mul_f32_e32 v92, v73, v15
	s_delay_alu instid0(VALU_DEP_4) | instskip(NEXT) | instid1(VALU_DEP_4)
	v_dual_fmac_f32 v42, v73, v14 :: v_dual_mul_f32 v81, v67, v25
	v_fmac_f32_e32 v41, v71, v12
	v_dual_mul_f32 v43, v64, v11 :: v_dual_fmac_f32 v50, v57, v30
	v_dual_mul_f32 v39, v66, v25 :: v_dual_fmac_f32 v48, v59, v16
	v_fma_f32 v49, v60, v18, -v78
	s_delay_alu instid0(VALU_DEP_3)
	v_fmac_f32_e32 v43, v65, v10
	v_fma_f32 v2, v72, v14, -v92
	v_dual_add_f32 v56, v0, v93 :: v_dual_add_f32 v59, v53, v42
	v_add_f32_e32 v57, v1, v53
	v_dual_sub_f32 v53, v53, v42 :: v_dual_add_f32 v62, v74, v41
	v_fma_f32 v46, v64, v10, -v80
	v_fma_f32 v45, v66, v24, -v81
	v_dual_fmac_f32 v39, v67, v24 :: v_dual_fmac_f32 v40, v69, v26
	v_fma_f32 v44, v68, v26, -v82
	v_fma_f32 v3, v70, v12, -v83
	v_add_f32_e32 v58, v93, v2
	v_sub_f32_e32 v60, v93, v2
	s_delay_alu instid0(VALU_DEP_4)
	v_dual_sub_f32 v64, v74, v41 :: v_dual_add_f32 v65, v95, v44
	v_dual_add_f32 v79, v49, v47 :: v_dual_add_f32 v56, v56, v94
	v_dual_add_f32 v57, v57, v74 :: v_dual_mul_f32 v74, 0xbeedf032, v53
	v_add_f32_e32 v61, v94, v3
	v_dual_sub_f32 v63, v94, v3 :: v_dual_add_f32 v66, v75, v40
	v_add_f32_e32 v69, v52, v45
	v_dual_sub_f32 v67, v95, v44 :: v_dual_add_f32 v70, v50, v39
	v_dual_sub_f32 v68, v75, v40 :: v_dual_sub_f32 v71, v52, v45
	v_dual_sub_f32 v72, v50, v39 :: v_dual_add_f32 v73, v51, v46
	v_dual_add_f32 v76, v48, v43 :: v_dual_sub_f32 v77, v51, v46
	v_dual_sub_f32 v78, v48, v43 :: v_dual_sub_f32 v81, v37, v38
	v_dual_sub_f32 v80, v49, v47 :: v_dual_mul_f32 v83, 0xbf52af12, v53
	v_dual_mul_f32 v82, 0xbeedf032, v60 :: v_dual_add_f32 v57, v57, v75
	v_dual_mul_f32 v92, 0xbf52af12, v60 :: v_dual_mul_f32 v101, 0xbf52af12, v63
	v_dual_mul_f32 v93, 0xbf7e222b, v53 :: v_dual_mul_f32 v94, 0xbf7e222b, v60
	;; [unrolled: 1-line block ×6, first 2 shown]
	v_dual_add_f32 v56, v56, v95 :: v_dual_fmamk_f32 v95, v59, 0x3f62ad3f, v82
	v_fma_f32 v75, 0x3f62ad3f, v58, -v74
	v_dual_mul_f32 v102, 0xbf6f5d39, v64 :: v_dual_mul_f32 v103, 0xbf6f5d39, v63
	v_dual_mul_f32 v104, 0xbe750f2a, v64 :: v_dual_mul_f32 v105, 0xbe750f2a, v63
	;; [unrolled: 1-line block ×9, first 2 shown]
	v_mul_f32_e32 v134, 0xbf52af12, v78
	v_dual_mul_f32 v136, 0x3e750f2a, v78 :: v_dual_mul_f32 v137, 0x3e750f2a, v77
	v_dual_mul_f32 v138, 0x3eedf032, v78 :: v_dual_mul_f32 v139, 0x3eedf032, v77
	v_mul_f32_e32 v78, 0xbf6f5d39, v78
	v_fma_f32 v82, 0x3f62ad3f, v59, -v82
	v_fma_f32 v141, 0x3f116cb1, v58, -v83
	v_fmac_f32_e32 v74, 0x3f62ad3f, v58
	v_dual_fmamk_f32 v142, v59, 0x3f116cb1, v92 :: v_dual_fmac_f32 v83, 0x3f116cb1, v58
	v_fma_f32 v92, 0x3f116cb1, v59, -v92
	v_fma_f32 v143, 0x3df6dbef, v58, -v93
	v_dual_fmamk_f32 v144, v59, 0x3df6dbef, v94 :: v_dual_fmac_f32 v93, 0x3df6dbef, v58
	v_fma_f32 v94, 0x3df6dbef, v59, -v94
	v_fma_f32 v145, 0xbeb58ec6, v58, -v96
	v_dual_fmamk_f32 v146, v59, 0xbeb58ec6, v97 :: v_dual_add_f32 v83, v0, v83
	v_fmac_f32_e32 v96, 0xbeb58ec6, v58
	v_fma_f32 v97, 0xbeb58ec6, v59, -v97
	v_fma_f32 v147, 0xbf3f9e67, v58, -v98
	v_fmamk_f32 v148, v59, 0xbf3f9e67, v99
	v_fmac_f32_e32 v98, 0xbf3f9e67, v58
	v_fma_f32 v99, 0xbf3f9e67, v59, -v99
	v_fma_f32 v149, 0xbf788fa5, v58, -v53
	v_dual_fmamk_f32 v150, v59, 0xbf788fa5, v60 :: v_dual_fmac_f32 v53, 0xbf788fa5, v58
	v_fma_f32 v58, 0xbf788fa5, v59, -v60
	v_fma_f32 v59, 0x3f116cb1, v61, -v100
	v_add_f32_e32 v52, v56, v52
	v_add_f32_e32 v50, v57, v50
	;; [unrolled: 1-line block ×3, first 2 shown]
	v_dual_mul_f32 v112, 0xbe750f2a, v68 :: v_dual_mul_f32 v113, 0xbe750f2a, v67
	v_dual_mul_f32 v114, 0x3f6f5d39, v68 :: v_dual_mul_f32 v115, 0x3f6f5d39, v67
	;; [unrolled: 1-line block ×10, first 2 shown]
	v_mul_f32_e32 v77, 0xbf6f5d39, v77
	v_dual_mul_f32 v140, 0xbe750f2a, v81 :: v_dual_add_f32 v75, v1, v82
	v_fmamk_f32 v60, v62, 0x3f116cb1, v101
	v_fmac_f32_e32 v100, 0x3f116cb1, v61
	v_fma_f32 v101, 0x3f116cb1, v62, -v101
	v_fma_f32 v151, 0xbeb58ec6, v61, -v102
	v_dual_fmamk_f32 v152, v62, 0xbeb58ec6, v103 :: v_dual_add_f32 v93, v0, v93
	v_fma_f32 v103, 0xbeb58ec6, v62, -v103
	v_fma_f32 v153, 0xbf788fa5, v61, -v104
	v_dual_fmamk_f32 v154, v62, 0xbf788fa5, v105 :: v_dual_add_f32 v97, v1, v97
	v_dual_fmac_f32 v104, 0xbf788fa5, v61 :: v_dual_add_f32 v99, v1, v99
	v_fma_f32 v105, 0xbf788fa5, v62, -v105
	v_fma_f32 v155, 0xbf3f9e67, v61, -v106
	v_fmamk_f32 v156, v62, 0xbf3f9e67, v107
	v_fmac_f32_e32 v106, 0xbf3f9e67, v61
	v_fma_f32 v107, 0xbf3f9e67, v62, -v107
	v_fma_f32 v157, 0x3df6dbef, v61, -v108
	v_dual_fmamk_f32 v158, v62, 0x3df6dbef, v109 :: v_dual_add_f32 v51, v52, v51
	v_fmac_f32_e32 v108, 0x3df6dbef, v61
	v_fma_f32 v109, 0x3df6dbef, v62, -v109
	v_fma_f32 v159, 0x3f62ad3f, v61, -v64
	v_fma_f32 v185, 0xbf788fa5, v73, -v136
	v_fma_f32 v189, 0xbeb58ec6, v73, -v78
	v_add_f32_e32 v57, v1, v95
	v_dual_add_f32 v82, v1, v142 :: v_dual_add_f32 v95, v0, v143
	v_fmac_f32_e32 v102, 0xbeb58ec6, v61
	v_dual_add_f32 v142, v0, v145 :: v_dual_add_f32 v143, v1, v146
	v_dual_fmamk_f32 v160, v62, 0x3f62ad3f, v63 :: v_dual_add_f32 v145, v1, v148
	v_fmac_f32_e32 v64, 0x3f62ad3f, v61
	v_fma_f32 v61, 0x3f62ad3f, v62, -v63
	v_fma_f32 v62, 0x3df6dbef, v65, -v110
	v_add_f32_e32 v48, v50, v48
	v_dual_add_f32 v50, v59, v56 :: v_dual_fmamk_f32 v63, v66, 0x3df6dbef, v111
	v_fmac_f32_e32 v110, 0x3df6dbef, v65
	v_fma_f32 v111, 0x3df6dbef, v66, -v111
	v_fma_f32 v161, 0xbf788fa5, v65, -v112
	v_fmamk_f32 v162, v66, 0xbf788fa5, v113
	v_fmac_f32_e32 v112, 0xbf788fa5, v65
	v_fma_f32 v113, 0xbf788fa5, v66, -v113
	v_fma_f32 v163, 0xbeb58ec6, v65, -v114
	v_fmamk_f32 v164, v66, 0xbeb58ec6, v115
	;; [unrolled: 4-line block ×3, first 2 shown]
	v_fma_f32 v117, 0x3f62ad3f, v66, -v117
	v_fma_f32 v167, 0x3f116cb1, v65, -v118
	v_fmamk_f32 v168, v66, 0x3f116cb1, v119
	v_fmac_f32_e32 v118, 0x3f116cb1, v65
	v_fma_f32 v119, 0x3f116cb1, v66, -v119
	v_fma_f32 v169, 0xbf3f9e67, v65, -v68
	v_dual_fmamk_f32 v170, v66, 0xbf3f9e67, v67 :: v_dual_add_f32 v49, v51, v49
	v_fma_f32 v171, 0xbf3f9e67, v69, -v122
	v_fmamk_f32 v172, v70, 0xbf3f9e67, v123
	v_fmac_f32_e32 v122, 0xbf3f9e67, v69
	v_fma_f32 v123, 0xbf3f9e67, v70, -v123
	v_fma_f32 v173, 0x3f62ad3f, v69, -v124
	v_fmamk_f32 v174, v70, 0x3f62ad3f, v125
	v_fmac_f32_e32 v124, 0x3f62ad3f, v69
	v_fma_f32 v125, 0x3f62ad3f, v70, -v125
	v_fma_f32 v175, 0x3df6dbef, v69, -v126
	v_fmac_f32_e32 v126, 0x3df6dbef, v69
	v_fma_f32 v177, 0xbf788fa5, v69, -v128
	v_fmamk_f32 v178, v70, 0xbf788fa5, v129
	v_fmac_f32_e32 v128, 0xbf788fa5, v69
	v_fma_f32 v129, 0xbf788fa5, v70, -v129
	v_fma_f32 v179, 0x3f116cb1, v69, -v72
	v_dual_fmac_f32 v72, 0x3f116cb1, v69 :: v_dual_add_f32 v47, v49, v47
	v_fma_f32 v181, 0x3df6dbef, v73, -v132
	v_fma_f32 v183, 0x3f116cb1, v73, -v134
	v_fmac_f32_e32 v134, 0x3f116cb1, v73
	v_fmac_f32_e32 v136, 0xbf788fa5, v73
	v_fma_f32 v187, 0x3f62ad3f, v73, -v138
	v_fmac_f32_e32 v138, 0x3f62ad3f, v73
	v_fmamk_f32 v190, v76, 0xbeb58ec6, v77
	v_fmac_f32_e32 v78, 0xbeb58ec6, v73
	v_add_f32_e32 v94, v1, v94
	v_add_f32_e32 v146, v0, v149
	v_fmac_f32_e32 v116, 0x3f62ad3f, v65
	v_fmamk_f32 v176, v70, 0x3df6dbef, v127
	v_fma_f32 v127, 0x3df6dbef, v70, -v127
	v_add_f32_e32 v56, v101, v75
	v_fmac_f32_e32 v68, 0xbf3f9e67, v65
	v_fma_f32 v65, 0xbf3f9e67, v66, -v67
	v_fma_f32 v66, 0xbeb58ec6, v69, -v120
	v_dual_fmamk_f32 v67, v70, 0xbeb58ec6, v121 :: v_dual_fmac_f32 v120, 0xbeb58ec6, v69
	v_fma_f32 v121, 0xbeb58ec6, v70, -v121
	v_fmamk_f32 v180, v70, 0x3f116cb1, v71
	v_fma_f32 v69, 0x3f116cb1, v70, -v71
	v_fma_f32 v70, 0xbf3f9e67, v73, -v130
	v_fmac_f32_e32 v132, 0x3df6dbef, v73
	v_add_f32_e32 v92, v1, v92
	v_add_f32_e32 v50, v62, v50
	v_fmac_f32_e32 v130, 0xbf3f9e67, v73
	v_fma_f32 v73, 0xbeb58ec6, v76, -v77
	v_add_f32_e32 v77, v0, v141
	v_add_f32_e32 v141, v1, v144
	v_dual_add_f32 v49, v66, v50 :: v_dual_add_f32 v144, v0, v147
	v_add_f32_e32 v147, v1, v150
	v_dual_add_f32 v1, v1, v58 :: v_dual_add_f32 v48, v48, v37
	v_fmamk_f32 v71, v76, 0xbf3f9e67, v131
	v_add_f32_e32 v74, v0, v74
	s_delay_alu instid0(VALU_DEP_3) | instskip(NEXT) | instid1(VALU_DEP_4)
	v_dual_add_f32 v96, v0, v96 :: v_dual_add_f32 v1, v61, v1
	v_dual_add_f32 v48, v48, v38 :: v_dual_add_f32 v59, v102, v83
	v_add_f32_e32 v83, v155, v142
	s_delay_alu instid0(VALU_DEP_3) | instskip(SKIP_3) | instid1(VALU_DEP_4)
	v_dual_add_f32 v58, v152, v82 :: v_dual_add_f32 v1, v65, v1
	v_fma_f32 v131, 0xbf3f9e67, v76, -v131
	v_dual_fmamk_f32 v182, v76, 0x3df6dbef, v133 :: v_dual_add_f32 v75, v154, v141
	v_fma_f32 v133, 0x3df6dbef, v76, -v133
	v_add_f32_e32 v69, v69, v1
	v_add_f32_e32 v1, v48, v43
	;; [unrolled: 1-line block ×6, first 2 shown]
	v_dual_add_f32 v1, v1, v39 :: v_dual_add_f32 v52, v60, v57
	v_dual_add_f32 v74, v153, v95 :: v_dual_mul_f32 v39, 0x3eedf032, v81
	v_add_f32_e32 v57, v151, v77
	s_delay_alu instid0(VALU_DEP_3) | instskip(NEXT) | instid1(VALU_DEP_4)
	v_add_f32_e32 v1, v1, v40
	v_dual_add_f32 v51, v63, v52 :: v_dual_add_f32 v52, v110, v53
	s_delay_alu instid0(VALU_DEP_3) | instskip(NEXT) | instid1(VALU_DEP_3)
	v_dual_add_f32 v53, v111, v56 :: v_dual_add_f32 v56, v161, v57
	v_add_f32_e32 v1, v1, v41
	v_fma_f32 v41, 0x3f62ad3f, v79, -v39
	v_add_f32_e32 v0, v64, v0
	v_fmamk_f32 v184, v76, 0x3f116cb1, v135
	s_delay_alu instid0(VALU_DEP_4) | instskip(SKIP_1) | instid1(VALU_DEP_4)
	v_dual_add_f32 v60, v103, v92 :: v_dual_add_f32 v1, v1, v42
	v_add_f32_e32 v50, v67, v51
	v_add_f32_e32 v0, v68, v0
	v_fma_f32 v135, 0x3f116cb1, v76, -v135
	v_dual_add_f32 v77, v104, v93 :: v_dual_add_f32 v64, v165, v83
	v_fmamk_f32 v188, v76, 0x3f62ad3f, v139
	s_delay_alu instid0(VALU_DEP_4) | instskip(SKIP_4) | instid1(VALU_DEP_4)
	v_add_f32_e32 v72, v72, v0
	v_add_f32_e32 v0, v47, v46
	v_fma_f32 v139, 0x3f62ad3f, v76, -v139
	v_dual_add_f32 v100, v160, v147 :: v_dual_add_f32 v69, v73, v69
	v_add_f32_e32 v61, v164, v75
	v_add_f32_e32 v0, v0, v45
	v_dual_add_f32 v46, v71, v50 :: v_dual_fmac_f32 v39, 0x3f62ad3f, v79
	v_dual_add_f32 v92, v156, v143 :: v_dual_add_f32 v95, v157, v144
	s_delay_alu instid0(VALU_DEP_3) | instskip(SKIP_2) | instid1(VALU_DEP_3)
	v_add_f32_e32 v0, v0, v44
	v_mul_f32_e32 v40, 0x3eedf032, v80
	v_mul_f32_e32 v42, 0xbf29c268, v80
	v_dual_add_f32 v0, v0, v3 :: v_dual_mul_f32 v3, 0xbe750f2a, v80
	v_add_f32_e32 v57, v162, v58
	v_dual_add_f32 v51, v120, v52 :: v_dual_add_f32 v52, v121, v53
	s_delay_alu instid0(VALU_DEP_3) | instskip(NEXT) | instid1(VALU_DEP_2)
	v_dual_add_f32 v53, v171, v56 :: v_dual_add_f32 v0, v0, v2
	v_dual_add_f32 v47, v130, v51 :: v_dual_add_f32 v48, v131, v52
	s_delay_alu instid0(VALU_DEP_2)
	v_add_f32_e32 v49, v181, v53
	v_dual_add_f32 v93, v106, v96 :: v_dual_add_f32 v58, v112, v59
	v_dual_add_f32 v59, v113, v60 :: v_dual_add_f32 v60, v163, v74
	v_fmamk_f32 v186, v76, 0xbf788fa5, v137
	v_fma_f32 v137, 0xbf788fa5, v76, -v137
	v_fma_f32 v76, 0xbf788fa5, v79, -v140
	v_add_f32_e32 v56, v172, v57
	v_add_f32_e32 v96, v158, v145
	v_fmac_f32_e32 v140, 0xbf788fa5, v79
	s_delay_alu instid0(VALU_DEP_4) | instskip(SKIP_3) | instid1(VALU_DEP_3)
	v_dual_add_f32 v2, v76, v43 :: v_dual_mul_f32 v43, 0x3f52af12, v81
	v_dual_add_f32 v57, v122, v58 :: v_dual_add_f32 v58, v123, v59
	v_add_f32_e32 v59, v173, v60
	v_dual_add_f32 v83, v168, v96 :: v_dual_add_f32 v62, v114, v77
	v_dual_add_f32 v51, v132, v57 :: v_dual_add_f32 v50, v182, v56
	s_delay_alu instid0(VALU_DEP_3) | instskip(SKIP_4) | instid1(VALU_DEP_3)
	v_dual_add_f32 v57, v183, v59 :: v_dual_add_f32 v82, v105, v94
	v_dual_add_f32 v94, v107, v97 :: v_dual_add_f32 v97, v108, v98
	;; [unrolled: 1-line block ×4, first 2 shown]
	v_add_f32_e32 v58, v39, v51
	v_add_f32_e32 v93, v119, v98
	v_fma_f32 v44, 0x3f116cb1, v79, -v43
	s_delay_alu instid0(VALU_DEP_4) | instskip(SKIP_1) | instid1(VALU_DEP_4)
	v_add_f32_e32 v65, v126, v75
	v_fmac_f32_e32 v43, 0x3f116cb1, v79
	v_dual_add_f32 v52, v140, v47 :: v_dual_add_f32 v75, v129, v93
	v_mul_f32_e32 v47, 0xbf6f5d39, v81
	v_dual_mul_f32 v51, 0x3f7e222b, v81 :: v_dual_add_f32 v68, v178, v83
	v_add_lshl_u32 v93, v89, v4, 3
	s_delay_alu instid0(VALU_DEP_4) | instskip(NEXT) | instid1(VALU_DEP_1)
	v_dual_add_f32 v70, v139, v75 :: v_dual_add_f32 v75, v37, v38
	v_dual_add_f32 v74, v166, v92 :: v_dual_fmamk_f32 v37, v75, 0xbf788fa5, v3
	v_fma_f32 v38, 0xbf788fa5, v75, -v3
	v_dual_add_f32 v63, v115, v82 :: v_dual_add_f32 v60, v174, v61
	s_delay_alu instid0(VALU_DEP_3)
	v_add_f32_e32 v3, v37, v46
	v_add_f32_e32 v37, v41, v49
	v_mul_f32_e32 v41, 0xbf29c268, v81
	v_add_f32_e32 v77, v117, v94
	v_dual_add_f32 v61, v124, v62 :: v_dual_add_f32 v62, v125, v63
	v_add_f32_e32 v53, v38, v48
	s_delay_alu instid0(VALU_DEP_4) | instskip(SKIP_3) | instid1(VALU_DEP_4)
	v_fma_f32 v39, 0xbf3f9e67, v79, -v41
	v_fmamk_f32 v38, v75, 0x3f62ad3f, v40
	v_fma_f32 v40, 0x3f62ad3f, v75, -v40
	v_dual_add_f32 v61, v134, v61 :: v_dual_add_f32 v62, v135, v62
	v_add_f32_e32 v39, v39, v57
	v_add_f32_e32 v63, v175, v64
	s_delay_alu instid0(VALU_DEP_4) | instskip(SKIP_2) | instid1(VALU_DEP_4)
	v_dual_add_f32 v59, v40, v56 :: v_dual_fmamk_f32 v40, v75, 0xbf3f9e67, v42
	v_fmac_f32_e32 v41, 0xbf3f9e67, v79
	v_fma_f32 v42, 0xbf3f9e67, v75, -v42
	v_dual_add_f32 v63, v185, v63 :: v_dual_mul_f32 v46, 0x3f52af12, v80
	v_add_f32_e32 v66, v127, v77
	s_delay_alu instid0(VALU_DEP_3) | instskip(NEXT) | instid1(VALU_DEP_3)
	v_dual_add_f32 v56, v41, v61 :: v_dual_add_f32 v57, v42, v62
	v_dual_add_f32 v41, v44, v63 :: v_dual_fmamk_f32 v42, v75, 0x3f116cb1, v46
	v_fma_f32 v44, 0x3f116cb1, v75, -v46
	v_fma_f32 v46, 0xbeb58ec6, v79, -v47
	v_add_f32_e32 v82, v167, v95
	v_add_f32_e32 v38, v38, v50
	v_mul_f32_e32 v48, 0xbf6f5d39, v80
	v_fma_f32 v50, 0x3df6dbef, v79, -v51
	v_add_f32_e32 v64, v176, v74
	v_dual_add_f32 v67, v177, v82 :: v_dual_add_f32 v92, v118, v97
	s_delay_alu instid0(VALU_DEP_4) | instskip(SKIP_1) | instid1(VALU_DEP_4)
	v_fmamk_f32 v49, v75, 0xbeb58ec6, v48
	v_add_f32_e32 v95, v170, v100
	v_dual_add_f32 v45, v186, v64 :: v_dual_add_f32 v64, v136, v65
	v_add_f32_e32 v94, v169, v99
	v_dual_add_f32 v65, v137, v66 :: v_dual_add_f32 v66, v187, v67
	v_add_f32_e32 v67, v188, v68
	s_delay_alu instid0(VALU_DEP_4) | instskip(NEXT) | instid1(VALU_DEP_4)
	v_add_f32_e32 v43, v43, v64
	v_dual_add_f32 v74, v128, v92 :: v_dual_add_f32 v77, v179, v94
	v_add_f32_e32 v82, v180, v95
	v_add_f32_e32 v60, v184, v60
	;; [unrolled: 1-line block ×3, first 2 shown]
	v_dual_add_f32 v45, v46, v66 :: v_dual_add_f32 v46, v49, v67
	v_dual_mul_f32 v49, 0x3f7e222b, v80 :: v_dual_add_f32 v68, v138, v74
	v_dual_add_f32 v71, v189, v77 :: v_dual_add_f32 v74, v190, v82
	v_add_f32_e32 v72, v78, v72
	v_add_f32_e32 v40, v40, v60
	s_delay_alu instid0(VALU_DEP_4)
	v_fmamk_f32 v60, v75, 0x3df6dbef, v49
	v_fmac_f32_e32 v51, 0x3df6dbef, v79
	v_fma_f32 v61, 0x3df6dbef, v75, -v49
	v_fmac_f32_e32 v47, 0xbeb58ec6, v79
	v_fma_f32 v48, 0xbeb58ec6, v75, -v48
	v_dual_add_f32 v49, v50, v71 :: v_dual_add_f32 v50, v60, v74
	s_delay_alu instid0(VALU_DEP_4) | instskip(NEXT) | instid1(VALU_DEP_4)
	v_dual_add_f32 v60, v51, v72 :: v_dual_add_f32 v61, v61, v69
	v_dual_add_f32 v44, v44, v65 :: v_dual_add_f32 v47, v47, v68
	s_delay_alu instid0(VALU_DEP_4)
	v_add_f32_e32 v48, v48, v70
	ds_store_2addr_b64 v93, v[0:1], v[2:3] offset1:17
	ds_store_2addr_b64 v93, v[37:38], v[39:40] offset0:34 offset1:51
	ds_store_2addr_b64 v93, v[41:42], v[45:46] offset0:68 offset1:85
	ds_store_2addr_b64 v93, v[49:50], v[60:61] offset0:102 offset1:119
	ds_store_2addr_b64 v93, v[47:48], v[43:44] offset0:136 offset1:153
	ds_store_2addr_b64 v93, v[56:57], v[58:59] offset0:170 offset1:187
	ds_store_b64 v93, v[52:53] offset:1632
	v_add_nc_u32_e32 v0, 0x400, v91
	global_wb scope:SCOPE_SE
	s_wait_dscnt 0x0
	s_barrier_signal -1
	s_barrier_wait -1
	global_inv scope:SCOPE_SE
	ds_load_2addr_b64 v[60:63], v91 offset1:85
	ds_load_2addr_b64 v[64:67], v0 offset0:93 offset1:178
	ds_load_2addr_b64 v[68:71], v7 offset0:58 offset1:143
	;; [unrolled: 1-line block ×4, first 2 shown]
	s_and_saveexec_b32 s1, s0
	s_cbranch_execz .LBB0_9
; %bb.8:
	v_add_nc_u32_e32 v0, 0x500, v91
	v_add_nc_u32_e32 v1, 0x1300, v91
	ds_load_2addr_b64 v[56:59], v0 offset0:10 offset1:231
	ds_load_2addr_b64 v[52:55], v1 offset0:4 offset1:225
	ds_load_b64 v[20:21], v91 offset:8432
.LBB0_9:
	s_wait_alu 0xfffe
	s_or_b32 exec_lo, exec_lo, s1
	v_lshlrev_b32_e32 v0, 5, v88
	v_lshl_add_u32 v92, v88, 3, v90
	s_clause 0x1
	global_load_b128 v[44:47], v0, s[2:3] offset:1632
	global_load_b128 v[40:43], v0, s[2:3] offset:1648
	v_add_nc_u32_e32 v94, v87, v90
	v_add_nc_u32_e32 v95, 0x600, v92
	s_wait_loadcnt_dscnt 0x103
	v_dual_mul_f32 v81, v64, v45 :: v_dual_add_nc_u32 v96, 0x1400, v92
	s_wait_loadcnt_dscnt 0x0
	v_dual_mul_f32 v101, v77, v43 :: v_dual_add_nc_u32 v0, 0xaa0, v0
	v_dual_mul_f32 v83, v68, v47 :: v_dual_mul_f32 v80, v65, v45
	s_clause 0x1
	global_load_b128 v[48:51], v0, s[2:3] offset:1632
	global_load_b128 v[36:39], v0, s[2:3] offset:1648
	v_add_co_u32 v0, s1, 0xaa, v88
	s_wait_alu 0xf1ff
	v_add_co_ci_u32_e64 v1, null, 0, 0, s1
	v_add_co_u32 v2, s1, 0xffffffcd, v88
	s_wait_alu 0xf1ff
	v_add_co_ci_u32_e64 v3, null, 0, -1, s1
	v_mul_f32_e32 v82, v69, v47
	s_delay_alu instid0(VALU_DEP_3) | instskip(SKIP_1) | instid1(VALU_DEP_4)
	v_cndmask_b32_e64 v0, v2, v0, s0
	v_mul_f32_e32 v99, v73, v41
	v_cndmask_b32_e64 v1, v3, v1, s0
	v_dual_mul_f32 v100, v72, v41 :: v_dual_add_nc_u32 v97, 0x900, v94
	v_dual_fmac_f32 v83, v69, v46 :: v_dual_mul_f32 v102, v76, v43
	s_delay_alu instid0(VALU_DEP_3)
	v_lshlrev_b64_e32 v[0:1], 5, v[0:1]
	v_dual_fmac_f32 v81, v65, v44 :: v_dual_add_nc_u32 v98, 0x1700, v94
	v_fma_f32 v64, v64, v44, -v80
	v_fma_f32 v65, v68, v46, -v82
	v_fma_f32 v72, v72, v40, -v99
	v_add_co_u32 v0, s1, s2, v0
	s_wait_alu 0xf1ff
	v_add_co_ci_u32_e64 v1, s1, s3, v1, s1
	s_clause 0x1
	global_load_b128 v[4:7], v[0:1], off offset:1632
	global_load_b128 v[0:3], v[0:1], off offset:1648
	v_fmac_f32_e32 v100, v73, v40
	v_fma_f32 v73, v76, v42, -v101
	v_fmac_f32_e32 v102, v77, v42
	v_sub_f32_e32 v108, v65, v72
	v_add_f32_e32 v105, v61, v81
	s_delay_alu instid0(VALU_DEP_4)
	v_sub_f32_e32 v104, v72, v73
	v_sub_f32_e32 v107, v64, v73
	s_wait_loadcnt 0x2
	v_dual_mul_f32 v68, v67, v49 :: v_dual_mul_f32 v101, v78, v39
	v_dual_mul_f32 v76, v66, v49 :: v_dual_mul_f32 v99, v79, v39
	v_mul_f32_e32 v69, v71, v51
	v_dual_mul_f32 v77, v70, v51 :: v_dual_mul_f32 v80, v75, v37
	s_delay_alu instid0(VALU_DEP_4)
	v_dual_mul_f32 v82, v74, v37 :: v_dual_fmac_f32 v101, v79, v38
	v_fma_f32 v103, v66, v48, -v68
	v_fmac_f32_e32 v76, v67, v48
	v_fma_f32 v70, v70, v50, -v69
	v_sub_f32_e32 v69, v64, v65
	v_fmac_f32_e32 v77, v71, v50
	v_dual_fmac_f32 v82, v75, v36 :: v_dual_add_f32 v75, v64, v73
	v_add_f32_e32 v66, v60, v64
	v_add_f32_e32 v67, v65, v72
	v_fma_f32 v71, v74, v36, -v80
	v_fma_f32 v80, v78, v38, -v99
	v_dual_sub_f32 v78, v81, v102 :: v_dual_sub_f32 v79, v83, v100
	v_sub_f32_e32 v74, v73, v72
	v_sub_f32_e32 v99, v65, v64
	v_dual_add_f32 v106, v83, v100 :: v_dual_sub_f32 v111, v100, v102
	v_dual_sub_f32 v64, v81, v83 :: v_dual_sub_f32 v109, v102, v100
	v_dual_add_f32 v110, v81, v102 :: v_dual_add_f32 v65, v66, v65
	v_sub_f32_e32 v81, v83, v81
	v_fma_f32 v68, -0.5, v67, v60
	v_dual_add_f32 v112, v69, v74 :: v_dual_add_f32 v99, v99, v104
	v_fma_f32 v66, -0.5, v75, v60
	v_dual_add_f32 v74, v105, v83 :: v_dual_add_f32 v83, v64, v109
	v_fma_f32 v69, -0.5, v106, v61
	v_fma_f32 v67, -0.5, v110, v61
	v_dual_add_f32 v81, v81, v111 :: v_dual_sub_f32 v114, v71, v80
	v_dual_add_f32 v75, v62, v103 :: v_dual_sub_f32 v106, v77, v82
	;; [unrolled: 1-line block ×3, first 2 shown]
	v_dual_sub_f32 v109, v103, v70 :: v_dual_sub_f32 v110, v80, v71
	v_dual_add_f32 v111, v103, v80 :: v_dual_add_f32 v116, v77, v82
	v_dual_sub_f32 v113, v70, v103 :: v_dual_sub_f32 v118, v76, v77
	v_dual_add_f32 v115, v63, v76 :: v_dual_add_f32 v120, v76, v101
	s_wait_loadcnt 0x1
	v_dual_sub_f32 v103, v103, v80 :: v_dual_mul_f32 v124, v53, v7
	v_dual_sub_f32 v119, v101, v82 :: v_dual_mul_f32 v122, v59, v5
	s_wait_loadcnt 0x0
	v_dual_sub_f32 v121, v82, v101 :: v_dual_mul_f32 v128, v21, v3
	v_dual_mul_f32 v123, v58, v5 :: v_dual_add_f32 v72, v65, v72
	v_dual_mul_f32 v125, v52, v7 :: v_dual_mul_f32 v126, v55, v1
	v_mul_f32_e32 v127, v54, v1
	v_dual_mul_f32 v129, v20, v3 :: v_dual_fmamk_f32 v60, v78, 0x3f737871, v68
	v_dual_sub_f32 v117, v70, v71 :: v_dual_sub_f32 v76, v77, v76
	v_fmac_f32_e32 v68, 0xbf737871, v78
	v_fmamk_f32 v64, v79, 0xbf737871, v66
	v_dual_fmac_f32 v66, 0x3f737871, v79 :: v_dual_fmamk_f32 v65, v108, 0x3f737871, v67
	v_dual_add_f32 v100, v74, v100 :: v_dual_fmamk_f32 v61, v107, 0xbf737871, v69
	v_dual_fmac_f32 v69, 0x3f737871, v107 :: v_dual_add_f32 v70, v75, v70
	v_fmac_f32_e32 v67, 0xbf737871, v108
	v_fma_f32 v74, -0.5, v104, v62
	v_dual_add_f32 v104, v109, v110 :: v_dual_add_f32 v77, v115, v77
	v_fma_f32 v62, -0.5, v111, v62
	v_dual_add_f32 v109, v113, v114 :: v_dual_add_f32 v110, v118, v119
	v_fma_f32 v113, v58, v4, -v122
	v_dual_fmac_f32 v123, v59, v4 :: v_dual_fmac_f32 v68, 0xbf167918, v79
	v_fma_f32 v52, v52, v6, -v124
	v_fmac_f32_e32 v125, v53, v6
	v_fma_f32 v53, v54, v0, -v126
	v_dual_fmac_f32 v127, v55, v0 :: v_dual_fmac_f32 v64, 0x3f167918, v78
	v_fma_f32 v54, v20, v2, -v128
	v_fmac_f32_e32 v129, v21, v2
	v_fma_f32 v75, -0.5, v116, v63
	v_dual_fmac_f32 v63, -0.5, v120 :: v_dual_add_f32 v58, v72, v73
	v_dual_add_f32 v111, v76, v121 :: v_dual_fmac_f32 v60, 0x3f167918, v79
	v_dual_fmac_f32 v66, 0xbf167918, v78 :: v_dual_fmac_f32 v61, 0xbf167918, v108
	v_dual_add_f32 v59, v100, v102 :: v_dual_fmamk_f32 v76, v105, 0x3f737871, v74
	v_dual_fmac_f32 v69, 0x3f167918, v108 :: v_dual_add_f32 v72, v52, v53
	v_fmac_f32_e32 v65, 0xbf167918, v107
	v_dual_fmac_f32 v67, 0x3f167918, v107 :: v_dual_sub_f32 v102, v54, v53
	v_add_f32_e32 v20, v70, v71
	v_fmac_f32_e32 v74, 0xbf737871, v105
	v_dual_fmamk_f32 v78, v106, 0xbf737871, v62 :: v_dual_add_f32 v21, v77, v82
	v_dual_add_f32 v55, v56, v113 :: v_dual_add_f32 v116, v125, v127
	v_dual_add_f32 v107, v113, v54 :: v_dual_sub_f32 v118, v52, v53
	v_dual_add_f32 v121, v123, v129 :: v_dual_fmac_f32 v64, 0x3e9e377a, v99
	v_dual_fmamk_f32 v77, v103, 0xbf737871, v75 :: v_dual_sub_f32 v100, v125, v127
	v_dual_fmamk_f32 v79, v117, 0x3f737871, v63 :: v_dual_sub_f32 v108, v52, v113
	v_dual_sub_f32 v73, v123, v129 :: v_dual_sub_f32 v120, v129, v127
	v_sub_f32_e32 v82, v113, v52
	v_dual_add_f32 v115, v57, v123 :: v_dual_fmac_f32 v60, 0x3e9e377a, v112
	v_dual_sub_f32 v113, v113, v54 :: v_dual_fmac_f32 v68, 0x3e9e377a, v112
	v_dual_fmac_f32 v61, 0x3e9e377a, v83 :: v_dual_add_f32 v70, v20, v80
	v_dual_fmac_f32 v69, 0x3e9e377a, v83 :: v_dual_add_f32 v52, v55, v52
	v_fmac_f32_e32 v65, 0x3e9e377a, v81
	v_dual_fmac_f32 v76, 0x3f167918, v106 :: v_dual_add_f32 v71, v21, v101
	v_fma_f32 v20, -0.5, v72, v56
	v_fmac_f32_e32 v56, -0.5, v107
	v_fma_f32 v21, -0.5, v116, v57
	s_delay_alu instid0(VALU_DEP_4) | instskip(SKIP_4) | instid1(VALU_DEP_3)
	v_dual_fmac_f32 v57, -0.5, v121 :: v_dual_fmac_f32 v76, 0x3e9e377a, v104
	v_dual_fmac_f32 v62, 0x3f737871, v106 :: v_dual_fmac_f32 v75, 0x3f737871, v103
	v_dual_fmac_f32 v63, 0xbf737871, v117 :: v_dual_sub_f32 v114, v53, v54
	v_dual_sub_f32 v119, v123, v125 :: v_dual_sub_f32 v122, v125, v123
	v_dual_sub_f32 v123, v127, v129 :: v_dual_fmac_f32 v66, 0x3e9e377a, v99
	v_dual_fmac_f32 v67, 0x3e9e377a, v81 :: v_dual_add_f32 v72, v108, v114
	v_dual_add_f32 v55, v82, v102 :: v_dual_add_f32 v80, v115, v125
	v_dual_add_f32 v81, v52, v53 :: v_dual_fmamk_f32 v82, v73, 0x3f737871, v20
	v_dual_fmac_f32 v20, 0xbf737871, v73 :: v_dual_fmamk_f32 v83, v113, 0xbf737871, v21
	v_fmamk_f32 v52, v100, 0xbf737871, v56
	v_dual_fmac_f32 v56, 0x3f737871, v100 :: v_dual_fmac_f32 v21, 0x3f737871, v113
	v_fmamk_f32 v53, v118, 0x3f737871, v57
	v_fmac_f32_e32 v57, 0xbf737871, v118
	v_dual_fmac_f32 v74, 0xbf167918, v106 :: v_dual_fmac_f32 v77, 0xbf167918, v117
	v_dual_fmac_f32 v78, 0x3f167918, v105 :: v_dual_fmac_f32 v63, 0x3f167918, v103
	;; [unrolled: 1-line block ×3, first 2 shown]
	v_dual_fmac_f32 v75, 0x3f167918, v117 :: v_dual_add_f32 v102, v80, v127
	s_delay_alu instid0(VALU_DEP_3)
	v_dual_add_f32 v99, v119, v120 :: v_dual_fmac_f32 v78, 0x3e9e377a, v109
	v_dual_add_f32 v101, v122, v123 :: v_dual_fmac_f32 v74, 0x3e9e377a, v104
	v_fmac_f32_e32 v82, 0x3f167918, v100
	v_dual_fmac_f32 v20, 0xbf167918, v100 :: v_dual_fmac_f32 v83, 0xbf167918, v118
	v_dual_fmac_f32 v52, 0x3f167918, v73 :: v_dual_fmac_f32 v21, 0x3f167918, v118
	v_fmac_f32_e32 v56, 0xbf167918, v73
	v_fmac_f32_e32 v53, 0xbf167918, v113
	v_fmac_f32_e32 v57, 0x3f167918, v113
	v_dual_fmac_f32 v62, 0x3e9e377a, v109 :: v_dual_fmac_f32 v77, 0x3e9e377a, v110
	v_dual_fmac_f32 v79, 0x3e9e377a, v111 :: v_dual_add_f32 v80, v81, v54
	v_dual_fmac_f32 v63, 0x3e9e377a, v111 :: v_dual_fmac_f32 v52, 0x3e9e377a, v72
	v_add_f32_e32 v81, v102, v129
	v_dual_fmac_f32 v75, 0x3e9e377a, v110 :: v_dual_fmac_f32 v82, 0x3e9e377a, v55
	v_dual_fmac_f32 v20, 0x3e9e377a, v55 :: v_dual_fmac_f32 v53, 0x3e9e377a, v101
	v_dual_fmac_f32 v56, 0x3e9e377a, v72 :: v_dual_fmac_f32 v83, 0x3e9e377a, v99
	v_fmac_f32_e32 v21, 0x3e9e377a, v99
	v_fmac_f32_e32 v57, 0x3e9e377a, v101
	ds_store_2addr_b64 v95, v[60:61], v[64:65] offset0:29 offset1:250
	ds_store_2addr_b64 v96, v[66:67], v[68:69] offset0:23 offset1:244
	ds_store_2addr_b64 v92, v[58:59], v[70:71] offset1:85
	ds_store_2addr_b64 v97, v[76:77], v[78:79] offset0:18 offset1:239
	ds_store_2addr_b64 v98, v[62:63], v[74:75] offset0:12 offset1:233
	s_and_saveexec_b32 s1, s0
	s_cbranch_execz .LBB0_11
; %bb.10:
	v_add_nc_u32_e32 v54, 0x500, v92
	v_add_nc_u32_e32 v55, 0x1300, v92
	ds_store_2addr_b64 v54, v[80:81], v[82:83] offset0:10 offset1:231
	ds_store_2addr_b64 v55, v[52:53], v[56:57] offset0:4 offset1:225
	ds_store_b64 v92, v[20:21] offset:8432
.LBB0_11:
	s_wait_alu 0xfffe
	s_or_b32 exec_lo, exec_lo, s1
	global_wb scope:SCOPE_SE
	s_wait_dscnt 0x0
	s_barrier_signal -1
	s_barrier_wait -1
	global_inv scope:SCOPE_SE
	s_and_saveexec_b32 s1, vcc_lo
	s_cbranch_execz .LBB0_13
; %bb.12:
	s_add_nc_u64 s[2:3], s[8:9], 0x2288
	s_clause 0x10
	global_load_b64 v[54:55], v87, s[8:9] offset:8840
	global_load_b64 v[72:73], v87, s[2:3] offset:520
	;; [unrolled: 1-line block ×17, first 2 shown]
	ds_load_2addr_b64 v[95:98], v92 offset1:65
	v_add_nc_u32_e32 v161, 0x800, v92
	v_add_nc_u32_e32 v162, 0x1000, v92
	s_wait_loadcnt_dscnt 0x1000
	v_dual_mul_f32 v160, v95, v55 :: v_dual_add_nc_u32 v163, 0x1800, v92
	s_wait_loadcnt 0xf
	v_mul_f32_e32 v164, v98, v73
	ds_load_2addr_b64 v[99:102], v92 offset0:130 offset1:195
	ds_load_2addr_b64 v[103:106], v161 offset0:4 offset1:69
	;; [unrolled: 1-line block ×3, first 2 shown]
	v_mul_f32_e32 v159, v96, v55
	ds_load_b64 v[157:158], v92 offset:8320
	ds_load_2addr_b64 v[111:114], v162 offset0:8 offset1:73
	ds_load_2addr_b64 v[115:118], v162 offset0:138 offset1:203
	;; [unrolled: 1-line block ×4, first 2 shown]
	v_dual_mul_f32 v55, v97, v73 :: v_dual_fmac_f32 v160, v96, v54
	v_fma_f32 v159, v95, v54, -v159
	v_fma_f32 v54, v97, v72, -v164
	s_wait_loadcnt_dscnt 0xd07
	v_dual_mul_f32 v166, v102, v130 :: v_dual_mul_f32 v165, v100, v128
	s_wait_loadcnt_dscnt 0xb06
	v_dual_mul_f32 v73, v99, v128 :: v_dual_mul_f32 v168, v106, v134
	v_dual_mul_f32 v128, v101, v130 :: v_dual_mul_f32 v167, v104, v132
	s_delay_alu instid0(VALU_DEP_2)
	v_dual_mul_f32 v130, v103, v132 :: v_dual_fmac_f32 v73, v100, v127
	s_wait_loadcnt_dscnt 0xa05
	v_dual_mul_f32 v132, v105, v134 :: v_dual_mul_f32 v169, v108, v136
	s_wait_loadcnt 0x9
	v_mul_f32_e32 v170, v110, v138
	v_mul_f32_e32 v134, v107, v136
	s_wait_loadcnt_dscnt 0x803
	v_dual_mul_f32 v136, v109, v138 :: v_dual_mul_f32 v171, v112, v140
	v_mul_f32_e32 v138, v111, v140
	s_wait_loadcnt_dscnt 0x602
	v_dual_mul_f32 v172, v114, v142 :: v_dual_mul_f32 v173, v116, v144
	s_wait_loadcnt_dscnt 0x401
	v_dual_mul_f32 v140, v113, v142 :: v_dual_mul_f32 v175, v120, v148
	v_mul_f32_e32 v142, v115, v144
	s_wait_loadcnt_dscnt 0x200
	v_dual_mul_f32 v174, v118, v146 :: v_dual_mul_f32 v177, v124, v152
	s_wait_loadcnt 0x0
	v_dual_mul_f32 v144, v117, v146 :: v_dual_mul_f32 v179, v158, v156
	v_mul_f32_e32 v146, v119, v148
	v_mul_f32_e32 v176, v122, v150
	v_dual_mul_f32 v148, v121, v150 :: v_dual_fmac_f32 v55, v98, v72
	v_mul_f32_e32 v150, v123, v152
	v_mul_f32_e32 v178, v126, v154
	;; [unrolled: 1-line block ×4, first 2 shown]
	v_fma_f32 v72, v99, v127, -v165
	v_fma_f32 v127, v101, v129, -v166
	v_fmac_f32_e32 v128, v102, v129
	v_fma_f32 v129, v103, v131, -v167
	v_fmac_f32_e32 v130, v104, v131
	;; [unrolled: 2-line block ×14, first 2 shown]
	ds_store_2addr_b64 v92, v[159:160], v[54:55] offset1:65
	ds_store_2addr_b64 v92, v[72:73], v[127:128] offset0:130 offset1:195
	ds_store_2addr_b64 v161, v[129:130], v[131:132] offset0:4 offset1:69
	;; [unrolled: 1-line block ×7, first 2 shown]
	ds_store_b64 v92, v[153:154] offset:8320
.LBB0_13:
	s_wait_alu 0xfffe
	s_or_b32 exec_lo, exec_lo, s1
	global_wb scope:SCOPE_SE
	s_wait_dscnt 0x0
	s_barrier_signal -1
	s_barrier_wait -1
	global_inv scope:SCOPE_SE
	s_and_saveexec_b32 s1, vcc_lo
	s_cbranch_execz .LBB0_15
; %bb.14:
	v_add_nc_u32_e32 v20, 0x1800, v92
	v_add_nc_u32_e32 v21, 0x1000, v92
	;; [unrolled: 1-line block ×3, first 2 shown]
	ds_load_2addr_b64 v[52:55], v20 offset0:12 offset1:77
	ds_load_2addr_b64 v[58:61], v92 offset1:65
	ds_load_2addr_b64 v[72:75], v21 offset0:8 offset1:73
	ds_load_2addr_b64 v[64:67], v92 offset0:130 offset1:195
	ds_load_b64 v[85:86], v92 offset:8320
	ds_load_2addr_b64 v[68:71], v22 offset0:4 offset1:69
	ds_load_2addr_b64 v[76:79], v22 offset0:134 offset1:199
	;; [unrolled: 1-line block ×4, first 2 shown]
	s_wait_dscnt 0x8
	v_dual_mov_b32 v56, v54 :: v_dual_mov_b32 v57, v55
	s_wait_dscnt 0x6
	v_dual_mov_b32 v63, v73 :: v_dual_mov_b32 v62, v72
.LBB0_15:
	s_wait_alu 0xfffe
	s_or_b32 exec_lo, exec_lo, s1
	s_wait_dscnt 0x4
	v_dual_sub_f32 v152, v61, v86 :: v_dual_sub_f32 v153, v60, v85
	v_dual_add_f32 v154, v86, v61 :: v_dual_add_f32 v147, v85, v60
	s_wait_dscnt 0x0
	v_sub_f32_e32 v109, v65, v23
	s_delay_alu instid0(VALU_DEP_3) | instskip(NEXT) | instid1(VALU_DEP_3)
	v_dual_mul_f32 v155, 0xbf65296c, v152 :: v_dual_add_f32 v110, v23, v65
	v_dual_mul_f32 v156, 0x3ee437d1, v154 :: v_dual_add_f32 v95, v22, v64
	v_dual_mul_f32 v157, 0xbf7ee86f, v152 :: v_dual_sub_f32 v96, v64, v22
	s_delay_alu instid0(VALU_DEP_3) | instskip(NEXT) | instid1(VALU_DEP_3)
	v_fma_f32 v54, 0x3ee437d1, v147, -v155
	v_fmamk_f32 v55, v153, 0xbf65296c, v156
	v_mul_f32_e32 v158, 0x3dbcf732, v154
	s_delay_alu instid0(VALU_DEP_4) | instskip(SKIP_3) | instid1(VALU_DEP_4)
	v_fma_f32 v72, 0x3dbcf732, v147, -v157
	v_dual_mul_f32 v123, 0xbe3c28d5, v109 :: v_dual_add_f32 v112, v21, v67
	v_add_f32_e32 v54, v58, v54
	v_dual_mul_f32 v134, 0xbf4c4adb, v109 :: v_dual_add_f32 v55, v59, v55
	v_dual_fmamk_f32 v73, v153, 0xbf7ee86f, v158 :: v_dual_add_f32 v72, v58, v72
	v_mul_f32_e32 v138, 0xbf1a4643, v110
	s_delay_alu instid0(VALU_DEP_3) | instskip(SKIP_1) | instid1(VALU_DEP_4)
	v_fma_f32 v97, 0xbf1a4643, v95, -v134
	v_fma_f32 v99, 0xbf7ba420, v95, -v123
	v_add_f32_e32 v73, v59, v73
	s_delay_alu instid0(VALU_DEP_4)
	v_dual_sub_f32 v111, v67, v21 :: v_dual_fmamk_f32 v98, v96, 0xbf4c4adb, v138
	v_sub_f32_e32 v113, v69, v57
	v_add_f32_e32 v54, v97, v54
	v_mul_f32_e32 v124, 0xbf7ba420, v110
	v_add_f32_e32 v97, v20, v66
	v_dual_mul_f32 v139, 0x3e3c28d5, v111 :: v_dual_add_f32 v72, v99, v72
	v_add_f32_e32 v55, v98, v55
	v_sub_f32_e32 v98, v66, v20
	v_mul_f32_e32 v126, 0xbe8c1d8e, v112
	s_delay_alu instid0(VALU_DEP_4) | instskip(SKIP_2) | instid1(VALU_DEP_4)
	v_fma_f32 v101, 0xbf7ba420, v97, -v139
	v_mul_f32_e32 v141, 0x3f763a35, v113
	v_add_f32_e32 v99, v56, v68
	v_dual_mul_f32 v125, 0x3f763a35, v111 :: v_dual_fmamk_f32 v102, v98, 0x3f763a35, v126
	v_fmamk_f32 v100, v96, 0xbe3c28d5, v124
	v_mul_f32_e32 v140, 0xbf7ba420, v112
	v_add_f32_e32 v54, v101, v54
	s_delay_alu instid0(VALU_DEP_4) | instskip(SKIP_1) | instid1(VALU_DEP_4)
	v_fma_f32 v101, 0xbe8c1d8e, v97, -v125
	v_sub_f32_e32 v115, v71, v53
	v_dual_add_f32 v73, v100, v73 :: v_dual_fmamk_f32 v100, v98, 0x3e3c28d5, v140
	v_fma_f32 v103, 0xbe8c1d8e, v99, -v141
	s_delay_alu instid0(VALU_DEP_4) | instskip(SKIP_1) | instid1(VALU_DEP_4)
	v_dual_add_f32 v72, v101, v72 :: v_dual_mul_f32 v127, 0x3eb8f4ab, v113
	v_dual_add_f32 v101, v52, v70 :: v_dual_add_f32 v116, v53, v71
	v_add_f32_e32 v55, v100, v55
	v_sub_f32_e32 v100, v68, v56
	v_add_f32_e32 v114, v57, v69
	v_dual_add_f32 v73, v102, v73 :: v_dual_add_f32 v54, v103, v54
	v_mul_f32_e32 v143, 0x3f2c7751, v115
	v_dual_mul_f32 v144, 0x3f3d2fb0, v116 :: v_dual_sub_f32 v117, v77, v83
	s_delay_alu instid0(VALU_DEP_4) | instskip(SKIP_3) | instid1(VALU_DEP_4)
	v_mul_f32_e32 v142, 0xbe8c1d8e, v114
	v_fma_f32 v104, 0x3f6eb680, v99, -v127
	v_sub_f32_e32 v102, v70, v52
	v_fma_f32 v106, 0x3f3d2fb0, v101, -v143
	v_dual_add_f32 v118, v83, v77 :: v_dual_fmamk_f32 v103, v100, 0x3f763a35, v142
	v_mul_f32_e32 v128, 0x3f6eb680, v114
	v_dual_mul_f32 v145, 0xbeb8f4ab, v117 :: v_dual_add_f32 v72, v104, v72
	s_delay_alu instid0(VALU_DEP_4) | instskip(NEXT) | instid1(VALU_DEP_3)
	v_dual_add_f32 v54, v106, v54 :: v_dual_mul_f32 v129, 0xbf65296c, v115
	v_fmamk_f32 v105, v100, 0x3eb8f4ab, v128
	v_add_f32_e32 v55, v103, v55
	v_dual_add_f32 v103, v82, v76 :: v_dual_sub_f32 v104, v76, v82
	s_delay_alu instid0(VALU_DEP_4) | instskip(NEXT) | instid1(VALU_DEP_4)
	v_fma_f32 v106, 0x3ee437d1, v101, -v129
	v_add_f32_e32 v73, v105, v73
	v_fmamk_f32 v105, v102, 0x3f2c7751, v144
	v_mul_f32_e32 v130, 0x3ee437d1, v116
	v_fma_f32 v108, 0x3f6eb680, v103, -v145
	v_dual_mul_f32 v131, 0xbf06c442, v117 :: v_dual_add_f32 v120, v81, v79
	s_delay_alu instid0(VALU_DEP_4) | instskip(NEXT) | instid1(VALU_DEP_3)
	v_add_f32_e32 v55, v105, v55
	v_dual_fmamk_f32 v107, v102, 0xbf65296c, v130 :: v_dual_add_f32 v54, v108, v54
	v_mul_f32_e32 v146, 0x3f6eb680, v118
	v_add_f32_e32 v72, v106, v72
	s_delay_alu instid0(VALU_DEP_3) | instskip(SKIP_1) | instid1(VALU_DEP_4)
	v_dual_sub_f32 v106, v78, v80 :: v_dual_add_f32 v73, v107, v73
	v_fma_f32 v107, 0xbf59a7d5, v103, -v131
	v_fmamk_f32 v105, v104, 0xbeb8f4ab, v146
	v_mul_f32_e32 v133, 0xbf59a7d5, v118
	v_mul_f32_e32 v135, 0xbf1a4643, v120
	global_wb scope:SCOPE_SE
	v_add_f32_e32 v72, v107, v72
	v_dual_sub_f32 v119, v79, v81 :: v_dual_fmamk_f32 v108, v104, 0xbf06c442, v133
	v_add_f32_e32 v55, v105, v55
	v_add_f32_e32 v105, v80, v78
	s_barrier_signal -1
	s_delay_alu instid0(VALU_DEP_3) | instskip(SKIP_3) | instid1(VALU_DEP_3)
	v_mul_f32_e32 v148, 0xbf7ee86f, v119
	v_dual_mul_f32 v132, 0x3f4c4adb, v119 :: v_dual_add_f32 v73, v108, v73
	v_sub_f32_e32 v108, v62, v74
	s_barrier_wait -1
	v_fma_f32 v121, 0x3dbcf732, v105, -v148
	v_mul_f32_e32 v149, 0x3dbcf732, v120
	v_fma_f32 v122, 0xbf1a4643, v105, -v132
	global_inv scope:SCOPE_SE
	v_dual_add_f32 v54, v121, v54 :: v_dual_fmamk_f32 v107, v106, 0xbf7ee86f, v149
	v_sub_f32_e32 v121, v63, v75
	v_dual_add_f32 v159, v122, v72 :: v_dual_add_f32 v122, v75, v63
	s_delay_alu instid0(VALU_DEP_3) | instskip(NEXT) | instid1(VALU_DEP_1)
	v_dual_fmamk_f32 v72, v106, 0x3f4c4adb, v135 :: v_dual_add_f32 v55, v107, v55
	v_dual_mul_f32 v137, 0x3f3d2fb0, v122 :: v_dual_add_f32 v160, v72, v73
	s_delay_alu instid0(VALU_DEP_4) | instskip(SKIP_1) | instid1(VALU_DEP_2)
	v_dual_add_f32 v107, v74, v62 :: v_dual_mul_f32 v136, 0x3f2c7751, v121
	v_mul_f32_e32 v150, 0xbf06c442, v121
	v_fma_f32 v161, 0x3f3d2fb0, v107, -v136
	v_mul_f32_e32 v151, 0xbf59a7d5, v122
	s_delay_alu instid0(VALU_DEP_3) | instskip(NEXT) | instid1(VALU_DEP_1)
	v_fma_f32 v72, 0xbf59a7d5, v107, -v150
	v_add_f32_e32 v72, v72, v54
	s_delay_alu instid0(VALU_DEP_3) | instskip(NEXT) | instid1(VALU_DEP_1)
	v_dual_add_f32 v54, v161, v159 :: v_dual_fmamk_f32 v73, v108, 0xbf06c442, v151
	v_dual_fmamk_f32 v162, v108, 0x3f2c7751, v137 :: v_dual_add_f32 v73, v73, v55
	s_delay_alu instid0(VALU_DEP_1)
	v_add_f32_e32 v55, v162, v160
	s_and_saveexec_b32 s1, vcc_lo
	s_cbranch_execz .LBB0_17
; %bb.16:
	v_dual_add_f32 v61, v61, v59 :: v_dual_add_f32 v60, v60, v58
	v_mul_f32_e32 v166, 0xbf65296c, v113
	v_mul_f32_e32 v172, 0xbf4c4adb, v121
	;; [unrolled: 1-line block ×3, first 2 shown]
	s_delay_alu instid0(VALU_DEP_4) | instskip(SKIP_2) | instid1(VALU_DEP_3)
	v_dual_add_f32 v61, v65, v61 :: v_dual_add_f32 v60, v64, v60
	v_mul_f32_e32 v168, 0x3f6eb680, v120
	v_mul_f32_e32 v170, 0xbeb8f4ab, v119
	v_dual_mul_f32 v180, 0x3ee437d1, v122 :: v_dual_add_f32 v61, v67, v61
	s_delay_alu instid0(VALU_DEP_4) | instskip(SKIP_2) | instid1(VALU_DEP_3)
	v_dual_add_f32 v60, v66, v60 :: v_dual_mul_f32 v167, 0xbe3c28d5, v115
	v_mul_f32_e32 v169, 0x3f7ee86f, v117
	v_mul_f32_e32 v165, 0x3dbcf732, v118
	v_dual_add_f32 v61, v69, v61 :: v_dual_add_f32 v60, v68, v60
	v_mul_f32_e32 v181, 0x3f65296c, v121
	s_delay_alu instid0(VALU_DEP_2) | instskip(SKIP_2) | instid1(VALU_DEP_3)
	v_dual_add_f32 v61, v71, v61 :: v_dual_add_f32 v60, v70, v60
	v_mul_f32_e32 v70, 0xbe3c28d5, v152
	v_mul_f32_e32 v71, 0xbf06c442, v152
	v_dual_add_f32 v61, v77, v61 :: v_dual_add_f32 v60, v76, v60
	s_delay_alu instid0(VALU_DEP_1) | instskip(NEXT) | instid1(VALU_DEP_1)
	v_dual_mul_f32 v76, 0xbf2c7751, v152 :: v_dual_add_f32 v61, v79, v61
	v_dual_add_f32 v60, v78, v60 :: v_dual_add_f32 v61, v63, v61
	s_delay_alu instid0(VALU_DEP_1) | instskip(NEXT) | instid1(VALU_DEP_1)
	v_dual_add_f32 v60, v62, v60 :: v_dual_add_f32 v61, v75, v61
	v_add_f32_e32 v60, v74, v60
	v_mul_f32_e32 v75, 0xbf763a35, v152
	s_delay_alu instid0(VALU_DEP_3) | instskip(NEXT) | instid1(VALU_DEP_2)
	v_dual_mul_f32 v74, 0xbf4c4adb, v152 :: v_dual_add_f32 v61, v81, v61
	v_dual_add_f32 v60, v80, v60 :: v_dual_fmamk_f32 v81, v147, 0xbe8c1d8e, v75
	v_fma_f32 v75, 0xbe8c1d8e, v147, -v75
	v_mul_f32_e32 v77, 0xbeb8f4ab, v152
	s_delay_alu instid0(VALU_DEP_3) | instskip(NEXT) | instid1(VALU_DEP_4)
	v_dual_add_f32 v61, v83, v61 :: v_dual_add_f32 v60, v82, v60
	v_add_f32_e32 v81, v58, v81
	s_delay_alu instid0(VALU_DEP_3) | instskip(NEXT) | instid1(VALU_DEP_3)
	v_fmamk_f32 v83, v147, 0x3f6eb680, v77
	v_dual_add_f32 v53, v53, v61 :: v_dual_add_f32 v52, v52, v60
	v_fma_f32 v77, 0x3f6eb680, v147, -v77
	v_fmamk_f32 v80, v147, 0xbf1a4643, v74
	v_mul_f32_e32 v61, 0xbe8c1d8e, v154
	s_delay_alu instid0(VALU_DEP_4) | instskip(SKIP_1) | instid1(VALU_DEP_4)
	v_dual_add_f32 v53, v57, v53 :: v_dual_add_f32 v52, v56, v52
	v_mul_f32_e32 v60, 0xbf1a4643, v154
	v_add_f32_e32 v80, v58, v80
	v_fma_f32 v74, 0xbf1a4643, v147, -v74
	s_delay_alu instid0(VALU_DEP_4) | instskip(NEXT) | instid1(VALU_DEP_1)
	v_dual_add_f32 v21, v21, v53 :: v_dual_add_f32 v20, v20, v52
	v_dual_add_f32 v164, v58, v74 :: v_dual_add_f32 v23, v23, v21
	s_delay_alu instid0(VALU_DEP_2)
	v_add_f32_e32 v22, v22, v20
	v_fmamk_f32 v82, v147, 0x3f3d2fb0, v76
	v_fma_f32 v76, 0x3f3d2fb0, v147, -v76
	v_fmamk_f32 v78, v147, 0xbf7ba420, v70
	v_fma_f32 v70, 0xbf7ba420, v147, -v70
	v_mul_f32_e32 v53, 0x3ee437d1, v147
	v_dual_fmamk_f32 v67, v153, 0x3f763a35, v61 :: v_dual_add_f32 v82, v58, v82
	s_delay_alu instid0(VALU_DEP_3)
	v_dual_fmac_f32 v61, 0xbf763a35, v153 :: v_dual_add_f32 v160, v58, v70
	v_dual_fmamk_f32 v79, v147, 0xbf59a7d5, v71 :: v_dual_add_f32 v70, v85, v22
	v_mul_f32_e32 v57, 0xbf59a7d5, v154
	v_add_f32_e32 v152, v58, v78
	v_dual_mul_f32 v20, 0xbf7ee86f, v153 :: v_dual_add_f32 v53, v53, v155
	v_fmamk_f32 v66, v153, 0x3f4c4adb, v60
	s_delay_alu instid0(VALU_DEP_4) | instskip(SKIP_1) | instid1(VALU_DEP_4)
	v_fmamk_f32 v65, v153, 0x3f06c442, v57
	v_mul_f32_e32 v56, 0xbf7ba420, v154
	v_dual_sub_f32 v20, v158, v20 :: v_dual_mul_f32 v21, 0x3dbcf732, v147
	v_mul_f32_e32 v62, 0x3f3d2fb0, v154
	v_dual_mul_f32 v63, 0x3f6eb680, v154 :: v_dual_add_f32 v154, v58, v79
	s_delay_alu instid0(VALU_DEP_4) | instskip(SKIP_3) | instid1(VALU_DEP_4)
	v_dual_add_f32 v79, v58, v53 :: v_dual_fmamk_f32 v64, v153, 0x3e3c28d5, v56
	v_dual_add_f32 v155, v59, v66 :: v_dual_mul_f32 v52, 0xbf65296c, v153
	v_fma_f32 v71, 0xbf59a7d5, v147, -v71
	v_dual_fmac_f32 v60, 0xbf4c4adb, v153 :: v_dual_add_f32 v53, v58, v83
	v_add_f32_e32 v147, v59, v64
	s_delay_alu instid0(VALU_DEP_4)
	v_dual_add_f32 v21, v21, v157 :: v_dual_sub_f32 v52, v156, v52
	v_dual_fmac_f32 v57, 0xbf06c442, v153 :: v_dual_add_f32 v156, v59, v67
	v_dual_fmamk_f32 v69, v153, 0x3eb8f4ab, v63 :: v_dual_add_f32 v162, v58, v71
	v_dual_add_f32 v157, v59, v20 :: v_dual_fmamk_f32 v68, v153, 0x3f2c7751, v62
	v_fmac_f32_e32 v56, 0xbe3c28d5, v153
	v_add_f32_e32 v78, v59, v52
	v_add_f32_e32 v161, v59, v57
	v_dual_mul_f32 v57, 0x3f3d2fb0, v110 :: v_dual_add_f32 v158, v58, v21
	v_add_f32_e32 v159, v59, v68
	v_add_f32_e32 v52, v59, v69
	v_add_f32_e32 v83, v59, v56
	s_delay_alu instid0(VALU_DEP_4)
	v_dual_add_f32 v21, v58, v77 :: v_dual_fmamk_f32 v22, v96, 0x3f2c7751, v57
	v_mul_f32_e32 v77, 0x3e3c28d5, v98
	v_mul_f32_e32 v56, 0x3ee437d1, v112
	v_dual_fmac_f32 v62, 0xbf2c7751, v153 :: v_dual_add_f32 v163, v59, v60
	v_fmac_f32_e32 v63, 0xbeb8f4ab, v153
	v_add_f32_e32 v153, v59, v65
	v_add_f32_e32 v71, v86, v23
	v_dual_add_f32 v22, v22, v52 :: v_dual_mul_f32 v65, 0xbf7ee86f, v113
	v_dual_mul_f32 v52, 0x3dbcf732, v114 :: v_dual_sub_f32 v77, v140, v77
	v_fmamk_f32 v23, v98, 0x3f65296c, v56
	v_dual_add_f32 v69, v59, v61 :: v_dual_add_f32 v68, v58, v75
	v_add_f32_e32 v61, v58, v76
	v_add_f32_e32 v67, v59, v62
	s_delay_alu instid0(VALU_DEP_4) | instskip(SKIP_3) | instid1(VALU_DEP_4)
	v_dual_add_f32 v22, v23, v22 :: v_dual_fmamk_f32 v23, v100, 0x3f7ee86f, v52
	v_add_f32_e32 v20, v59, v63
	v_mul_f32_e32 v62, 0xbf2c7751, v109
	v_mul_f32_e32 v66, 0xbf65296c, v111
	v_dual_mul_f32 v63, 0xbf763a35, v115 :: v_dual_add_f32 v22, v23, v22
	v_mul_f32_e32 v23, 0xbe8c1d8e, v116
	v_mul_f32_e32 v86, 0xbf1a4643, v112
	;; [unrolled: 1-line block ×3, first 2 shown]
	v_fmac_f32_e32 v56, 0xbf65296c, v98
	s_delay_alu instid0(VALU_DEP_4) | instskip(SKIP_1) | instid1(VALU_DEP_2)
	v_fmamk_f32 v58, v102, 0x3f763a35, v23
	v_fmac_f32_e32 v23, 0xbf763a35, v102
	v_add_f32_e32 v58, v58, v22
	v_mul_f32_e32 v22, 0xbf1a4643, v118
	s_delay_alu instid0(VALU_DEP_1) | instskip(NEXT) | instid1(VALU_DEP_1)
	v_fmamk_f32 v59, v104, 0x3f4c4adb, v22
	v_add_f32_e32 v58, v59, v58
	v_fmamk_f32 v59, v95, 0x3f3d2fb0, v62
	s_delay_alu instid0(VALU_DEP_1) | instskip(SKIP_1) | instid1(VALU_DEP_1)
	v_add_f32_e32 v59, v59, v53
	v_mul_f32_e32 v53, 0xbf59a7d5, v120
	v_fmamk_f32 v60, v106, 0x3f06c442, v53
	s_delay_alu instid0(VALU_DEP_1) | instskip(SKIP_2) | instid1(VALU_DEP_2)
	v_add_f32_e32 v64, v60, v58
	v_fmamk_f32 v58, v97, 0x3ee437d1, v66
	v_mul_f32_e32 v60, 0xbf4c4adb, v117
	v_dual_add_f32 v58, v58, v59 :: v_dual_fmamk_f32 v59, v99, 0x3dbcf732, v65
	v_fmac_f32_e32 v57, 0xbf2c7751, v96
	v_fmac_f32_e32 v52, 0xbf7ee86f, v100
	s_delay_alu instid0(VALU_DEP_3) | instskip(NEXT) | instid1(VALU_DEP_3)
	v_dual_add_f32 v58, v59, v58 :: v_dual_fmamk_f32 v59, v101, 0xbe8c1d8e, v63
	v_dual_add_f32 v20, v57, v20 :: v_dual_fmac_f32 v53, 0xbf06c442, v106
	s_delay_alu instid0(VALU_DEP_2) | instskip(NEXT) | instid1(VALU_DEP_2)
	v_add_f32_e32 v58, v59, v58
	v_dual_fmamk_f32 v59, v103, 0xbf1a4643, v60 :: v_dual_add_f32 v20, v56, v20
	v_fma_f32 v56, 0x3dbcf732, v99, -v65
	v_fmac_f32_e32 v22, 0xbf4c4adb, v104
	s_delay_alu instid0(VALU_DEP_3) | instskip(NEXT) | instid1(VALU_DEP_4)
	v_dual_add_f32 v58, v59, v58 :: v_dual_mul_f32 v59, 0xbf06c442, v119
	v_add_f32_e32 v20, v52, v20
	v_fma_f32 v52, 0xbe8c1d8e, v101, -v63
	s_delay_alu instid0(VALU_DEP_3) | instskip(NEXT) | instid1(VALU_DEP_3)
	v_fmamk_f32 v74, v105, 0xbf59a7d5, v59
	v_add_f32_e32 v20, v23, v20
	s_delay_alu instid0(VALU_DEP_2) | instskip(SKIP_1) | instid1(VALU_DEP_1)
	v_add_f32_e32 v74, v74, v58
	v_mul_f32_e32 v58, 0xbf7ba420, v122
	v_dual_add_f32 v20, v22, v20 :: v_dual_fmamk_f32 v75, v108, 0x3e3c28d5, v58
	s_delay_alu instid0(VALU_DEP_1) | instskip(NEXT) | instid1(VALU_DEP_2)
	v_add_f32_e32 v20, v53, v20
	v_dual_add_f32 v75, v75, v64 :: v_dual_mul_f32 v64, 0xbe3c28d5, v121
	s_delay_alu instid0(VALU_DEP_1) | instskip(NEXT) | instid1(VALU_DEP_1)
	v_fmamk_f32 v76, v107, 0xbf7ba420, v64
	v_add_f32_e32 v74, v76, v74
	v_mul_f32_e32 v76, 0xbf4c4adb, v96
	s_delay_alu instid0(VALU_DEP_1) | instskip(SKIP_2) | instid1(VALU_DEP_3)
	v_sub_f32_e32 v76, v138, v76
	v_mul_f32_e32 v138, 0xbf59a7d5, v116
	v_fma_f32 v22, 0xbf59a7d5, v105, -v59
	v_add_f32_e32 v76, v76, v78
	v_mul_f32_e32 v78, 0xbf1a4643, v95
	s_delay_alu instid0(VALU_DEP_2) | instskip(NEXT) | instid1(VALU_DEP_2)
	v_add_f32_e32 v76, v77, v76
	v_dual_mul_f32 v77, 0x3f763a35, v100 :: v_dual_add_f32 v78, v78, v134
	s_delay_alu instid0(VALU_DEP_1) | instskip(SKIP_1) | instid1(VALU_DEP_2)
	v_dual_mul_f32 v134, 0xbf7ba420, v114 :: v_dual_sub_f32 v77, v142, v77
	v_fma_f32 v57, 0x3ee437d1, v97, -v66
	v_dual_add_f32 v76, v77, v76 :: v_dual_mul_f32 v77, 0x3f2c7751, v102
	s_delay_alu instid0(VALU_DEP_1) | instskip(NEXT) | instid1(VALU_DEP_1)
	v_sub_f32_e32 v77, v144, v77
	v_dual_add_f32 v76, v77, v76 :: v_dual_add_f32 v77, v78, v79
	v_mul_f32_e32 v79, 0xbeb8f4ab, v104
	s_delay_alu instid0(VALU_DEP_1) | instskip(NEXT) | instid1(VALU_DEP_1)
	v_sub_f32_e32 v79, v146, v79
	v_dual_add_f32 v76, v79, v76 :: v_dual_mul_f32 v79, 0xbf7ee86f, v106
	s_delay_alu instid0(VALU_DEP_1) | instskip(SKIP_2) | instid1(VALU_DEP_3)
	v_sub_f32_e32 v79, v149, v79
	v_mul_f32_e32 v149, 0x3eb8f4ab, v121
	v_fma_f32 v23, 0xbf1a4643, v103, -v60
	v_add_f32_e32 v76, v79, v76
	v_mul_f32_e32 v79, 0xbf06c442, v108
	s_delay_alu instid0(VALU_DEP_1) | instskip(NEXT) | instid1(VALU_DEP_1)
	v_dual_sub_f32 v79, v151, v79 :: v_dual_mul_f32 v78, 0xbf7ba420, v97
	v_dual_mul_f32 v151, 0x3ee437d1, v114 :: v_dual_add_f32 v78, v78, v139
	v_mul_f32_e32 v139, 0xbe8c1d8e, v118
	s_delay_alu instid0(VALU_DEP_2) | instskip(NEXT) | instid1(VALU_DEP_1)
	v_dual_add_f32 v77, v78, v77 :: v_dual_mul_f32 v78, 0xbe8c1d8e, v99
	v_add_f32_e32 v78, v78, v141
	v_mul_f32_e32 v141, 0xbf7ee86f, v109
	s_delay_alu instid0(VALU_DEP_2) | instskip(SKIP_2) | instid1(VALU_DEP_2)
	v_add_f32_e32 v77, v78, v77
	v_mul_f32_e32 v78, 0x3f3d2fb0, v101
	v_fmac_f32_e32 v58, 0xbe3c28d5, v108
	v_add_f32_e32 v78, v78, v143
	s_delay_alu instid0(VALU_DEP_1) | instskip(NEXT) | instid1(VALU_DEP_1)
	v_dual_add_f32 v77, v78, v77 :: v_dual_mul_f32 v78, 0x3f6eb680, v103
	v_add_f32_e32 v78, v78, v145
	s_delay_alu instid0(VALU_DEP_1) | instskip(SKIP_1) | instid1(VALU_DEP_1)
	v_add_f32_e32 v77, v78, v77
	v_mul_f32_e32 v78, 0x3dbcf732, v105
	v_add_f32_e32 v78, v78, v148
	v_mul_f32_e32 v148, 0x3f6eb680, v122
	s_delay_alu instid0(VALU_DEP_2) | instskip(NEXT) | instid1(VALU_DEP_1)
	v_dual_add_f32 v78, v78, v77 :: v_dual_mul_f32 v77, 0xbf59a7d5, v107
	v_add_f32_e32 v85, v77, v150
	v_add_f32_e32 v77, v79, v76
	s_delay_alu instid0(VALU_DEP_2) | instskip(SKIP_1) | instid1(VALU_DEP_1)
	v_dual_fmamk_f32 v79, v98, 0x3f4c4adb, v86 :: v_dual_add_f32 v76, v85, v78
	v_mul_f32_e32 v85, 0x3dbcf732, v110
	v_fmamk_f32 v78, v96, 0x3f7ee86f, v85
	s_delay_alu instid0(VALU_DEP_1) | instskip(SKIP_1) | instid1(VALU_DEP_2)
	v_dual_fmac_f32 v85, 0xbf7ee86f, v96 :: v_dual_add_f32 v78, v78, v159
	v_mul_f32_e32 v159, 0x3f2c7751, v111
	v_dual_add_f32 v67, v85, v67 :: v_dual_add_f32 v78, v79, v78
	v_fmamk_f32 v79, v100, 0x3e3c28d5, v134
	s_delay_alu instid0(VALU_DEP_1) | instskip(NEXT) | instid1(VALU_DEP_1)
	v_dual_add_f32 v78, v79, v78 :: v_dual_fmamk_f32 v79, v102, 0xbf06c442, v138
	v_dual_add_f32 v78, v79, v78 :: v_dual_fmamk_f32 v79, v104, 0xbf763a35, v139
	s_delay_alu instid0(VALU_DEP_1) | instskip(SKIP_1) | instid1(VALU_DEP_1)
	v_dual_fmac_f32 v139, 0x3f763a35, v104 :: v_dual_add_f32 v78, v79, v78
	v_fmamk_f32 v79, v106, 0xbf65296c, v140
	v_add_f32_e32 v78, v79, v78
	v_fmamk_f32 v79, v95, 0x3dbcf732, v141
	s_delay_alu instid0(VALU_DEP_1) | instskip(NEXT) | instid1(VALU_DEP_1)
	v_dual_add_f32 v79, v79, v82 :: v_dual_mul_f32 v82, 0xbf4c4adb, v111
	v_fmamk_f32 v142, v97, 0xbf1a4643, v82
	s_delay_alu instid0(VALU_DEP_1) | instskip(NEXT) | instid1(VALU_DEP_1)
	v_dual_add_f32 v79, v142, v79 :: v_dual_mul_f32 v142, 0xbe3c28d5, v113
	v_fmamk_f32 v143, v99, 0xbf7ba420, v142
	s_delay_alu instid0(VALU_DEP_1) | instskip(SKIP_2) | instid1(VALU_DEP_1)
	v_add_f32_e32 v79, v143, v79
	v_mul_f32_e32 v143, 0x3f06c442, v115
	v_fmac_f32_e32 v86, 0xbf4c4adb, v98
	v_dual_fmamk_f32 v144, v101, 0xbf59a7d5, v143 :: v_dual_add_f32 v67, v86, v67
	s_delay_alu instid0(VALU_DEP_1) | instskip(SKIP_1) | instid1(VALU_DEP_2)
	v_dual_add_f32 v79, v144, v79 :: v_dual_mul_f32 v144, 0x3f763a35, v117
	v_fmac_f32_e32 v134, 0xbe3c28d5, v100
	v_fmamk_f32 v145, v103, 0xbe8c1d8e, v144
	s_delay_alu instid0(VALU_DEP_2) | instskip(NEXT) | instid1(VALU_DEP_2)
	v_add_f32_e32 v67, v134, v67
	v_add_f32_e32 v79, v145, v79
	v_mul_f32_e32 v145, 0x3f65296c, v119
	v_fmac_f32_e32 v138, 0x3f06c442, v102
	s_delay_alu instid0(VALU_DEP_1) | instskip(NEXT) | instid1(VALU_DEP_1)
	v_dual_fmamk_f32 v146, v105, 0x3ee437d1, v145 :: v_dual_add_f32 v67, v138, v67
	v_dual_add_f32 v146, v146, v79 :: v_dual_fmamk_f32 v79, v108, 0xbeb8f4ab, v148
	s_delay_alu instid0(VALU_DEP_2) | instskip(NEXT) | instid1(VALU_DEP_2)
	v_add_f32_e32 v67, v139, v67
	v_add_f32_e32 v79, v79, v78
	v_fmamk_f32 v78, v107, 0x3f6eb680, v149
	v_fmac_f32_e32 v140, 0x3f65296c, v106
	s_delay_alu instid0(VALU_DEP_2) | instskip(SKIP_1) | instid1(VALU_DEP_1)
	v_add_f32_e32 v78, v78, v146
	v_mul_lo_u16 v146, v88, 17
	v_dual_add_f32 v67, v140, v67 :: v_dual_and_b32 v146, 0xffff, v146
	s_delay_alu instid0(VALU_DEP_1)
	v_lshl_add_u32 v90, v146, 3, v90
	ds_store_2addr_b64 v90, v[70:71], v[74:75] offset1:1
	ds_store_2addr_b64 v90, v[78:79], v[76:77] offset0:2 offset1:3
	v_mul_f32_e32 v77, 0xbe8c1d8e, v97
	v_mul_f32_e32 v146, 0xbf59a7d5, v110
	;; [unrolled: 1-line block ×3, first 2 shown]
	s_delay_alu instid0(VALU_DEP_2) | instskip(NEXT) | instid1(VALU_DEP_2)
	v_dual_add_f32 v77, v77, v125 :: v_dual_fmamk_f32 v70, v96, 0xbf06c442, v146
	v_dual_mul_f32 v150, 0x3f3d2fb0, v112 :: v_dual_sub_f32 v75, v126, v75
	v_mul_f32_e32 v125, 0xbf1a4643, v114
	v_mul_f32_e32 v126, 0x3f65296c, v109
	s_delay_alu instid0(VALU_DEP_4) | instskip(NEXT) | instid1(VALU_DEP_4)
	v_add_f32_e32 v70, v70, v156
	v_fmamk_f32 v71, v98, 0xbf2c7751, v150
	v_mul_f32_e32 v156, 0x3f06c442, v109
	v_fmac_f32_e32 v146, 0x3f06c442, v96
	s_delay_alu instid0(VALU_DEP_3) | instskip(NEXT) | instid1(VALU_DEP_2)
	v_dual_add_f32 v70, v71, v70 :: v_dual_fmamk_f32 v71, v100, 0x3f65296c, v151
	v_add_f32_e32 v69, v146, v69
	s_delay_alu instid0(VALU_DEP_2) | instskip(SKIP_1) | instid1(VALU_DEP_1)
	v_dual_fmac_f32 v151, 0xbf65296c, v100 :: v_dual_add_f32 v70, v71, v70
	v_fmamk_f32 v71, v95, 0xbf59a7d5, v156
	v_add_f32_e32 v71, v71, v81
	v_mul_f32_e32 v81, 0xbf7ba420, v116
	s_delay_alu instid0(VALU_DEP_1) | instskip(SKIP_1) | instid1(VALU_DEP_2)
	v_fmamk_f32 v74, v102, 0x3e3c28d5, v81
	v_fmac_f32_e32 v81, 0xbe3c28d5, v102
	v_add_f32_e32 v70, v74, v70
	v_fmamk_f32 v74, v97, 0x3f3d2fb0, v159
	s_delay_alu instid0(VALU_DEP_1) | instskip(NEXT) | instid1(VALU_DEP_1)
	v_dual_add_f32 v71, v74, v71 :: v_dual_fmamk_f32 v74, v104, 0xbf7ee86f, v165
	v_add_f32_e32 v70, v74, v70
	v_fmamk_f32 v74, v99, 0x3ee437d1, v166
	s_delay_alu instid0(VALU_DEP_1) | instskip(NEXT) | instid1(VALU_DEP_1)
	v_dual_add_f32 v71, v74, v71 :: v_dual_fmamk_f32 v74, v101, 0xbf7ba420, v167
	v_add_f32_e32 v71, v74, v71
	v_fmamk_f32 v74, v106, 0x3eb8f4ab, v168
	s_delay_alu instid0(VALU_DEP_1) | instskip(SKIP_2) | instid1(VALU_DEP_2)
	v_add_f32_e32 v70, v74, v70
	v_fmamk_f32 v74, v103, 0x3dbcf732, v169
	v_fmac_f32_e32 v165, 0x3f7ee86f, v104
	v_dual_add_f32 v71, v74, v71 :: v_dual_fmamk_f32 v74, v105, 0x3f6eb680, v170
	v_fmac_f32_e32 v148, 0x3eb8f4ab, v108
	s_delay_alu instid0(VALU_DEP_2) | instskip(NEXT) | instid1(VALU_DEP_1)
	v_dual_add_f32 v74, v74, v71 :: v_dual_fmamk_f32 v71, v108, 0x3f4c4adb, v171
	v_add_f32_e32 v71, v71, v70
	v_fmamk_f32 v70, v107, 0xbf1a4643, v172
	s_delay_alu instid0(VALU_DEP_1) | instskip(SKIP_1) | instid1(VALU_DEP_1)
	v_dual_fmac_f32 v171, 0xbf4c4adb, v108 :: v_dual_add_f32 v70, v70, v74
	v_mul_f32_e32 v74, 0xbe3c28d5, v96
	v_sub_f32_e32 v74, v124, v74
	v_mul_f32_e32 v124, 0x3dbcf732, v112
	s_delay_alu instid0(VALU_DEP_2) | instskip(NEXT) | instid1(VALU_DEP_1)
	v_add_f32_e32 v74, v74, v157
	v_dual_mul_f32 v157, 0x3f763a35, v109 :: v_dual_add_f32 v74, v75, v74
	v_mul_f32_e32 v75, 0xbf7ba420, v95
	s_delay_alu instid0(VALU_DEP_1) | instskip(SKIP_1) | instid1(VALU_DEP_2)
	v_add_f32_e32 v75, v75, v123
	v_mul_f32_e32 v123, 0x3ee437d1, v110
	v_add_f32_e32 v75, v75, v158
	s_delay_alu instid0(VALU_DEP_1) | instskip(SKIP_2) | instid1(VALU_DEP_2)
	v_add_f32_e32 v75, v77, v75
	v_mul_f32_e32 v77, 0x3f6eb680, v99
	v_fmac_f32_e32 v150, 0x3f2c7751, v98
	v_dual_fmac_f32 v168, 0xbeb8f4ab, v106 :: v_dual_add_f32 v77, v77, v127
	v_mul_f32_e32 v127, 0x3f6eb680, v116
	s_delay_alu instid0(VALU_DEP_3) | instskip(NEXT) | instid1(VALU_DEP_3)
	v_add_f32_e32 v69, v150, v69
	v_add_f32_e32 v75, v77, v75
	v_mul_f32_e32 v77, 0x3ee437d1, v101
	s_delay_alu instid0(VALU_DEP_3) | instskip(NEXT) | instid1(VALU_DEP_2)
	v_add_f32_e32 v69, v151, v69
	v_add_f32_e32 v77, v77, v129
	v_mul_f32_e32 v129, 0xbf7ba420, v118
	s_delay_alu instid0(VALU_DEP_3) | instskip(NEXT) | instid1(VALU_DEP_3)
	v_add_f32_e32 v69, v81, v69
	v_add_f32_e32 v75, v77, v75
	v_mul_f32_e32 v77, 0xbf59a7d5, v103
	s_delay_alu instid0(VALU_DEP_3) | instskip(NEXT) | instid1(VALU_DEP_2)
	v_add_f32_e32 v69, v165, v69
	v_add_f32_e32 v77, v77, v131
	v_mul_f32_e32 v131, 0x3f3d2fb0, v120
	s_delay_alu instid0(VALU_DEP_3) | instskip(NEXT) | instid1(VALU_DEP_3)
	v_add_f32_e32 v69, v168, v69
	v_add_f32_e32 v75, v77, v75
	v_mul_f32_e32 v77, 0x3f2c7751, v108
	s_delay_alu instid0(VALU_DEP_3) | instskip(NEXT) | instid1(VALU_DEP_2)
	v_add_f32_e32 v69, v171, v69
	v_dual_sub_f32 v77, v137, v77 :: v_dual_mul_f32 v76, 0x3eb8f4ab, v100
	s_delay_alu instid0(VALU_DEP_1) | instskip(SKIP_1) | instid1(VALU_DEP_2)
	v_dual_mul_f32 v137, 0xbf763a35, v121 :: v_dual_sub_f32 v76, v128, v76
	v_mul_f32_e32 v128, 0xbf7ee86f, v111
	v_add_f32_e32 v74, v76, v74
	v_mul_f32_e32 v76, 0xbf65296c, v102
	s_delay_alu instid0(VALU_DEP_1) | instskip(SKIP_1) | instid1(VALU_DEP_2)
	v_sub_f32_e32 v76, v130, v76
	v_mul_f32_e32 v130, 0x3f4c4adb, v113
	v_add_f32_e32 v74, v76, v74
	v_mul_f32_e32 v76, 0xbf06c442, v104
	s_delay_alu instid0(VALU_DEP_1) | instskip(NEXT) | instid1(VALU_DEP_1)
	v_dual_sub_f32 v76, v133, v76 :: v_dual_mul_f32 v133, 0xbe3c28d5, v117
	v_add_f32_e32 v74, v76, v74
	v_mul_f32_e32 v76, 0x3f4c4adb, v106
	s_delay_alu instid0(VALU_DEP_1) | instskip(NEXT) | instid1(VALU_DEP_1)
	v_dual_sub_f32 v76, v135, v76 :: v_dual_mul_f32 v135, 0x3f2c7751, v119
	v_add_f32_e32 v74, v76, v74
	v_mul_f32_e32 v76, 0xbf1a4643, v105
	s_delay_alu instid0(VALU_DEP_1) | instskip(SKIP_1) | instid1(VALU_DEP_2)
	v_add_f32_e32 v76, v76, v132
	v_mul_f32_e32 v132, 0xbeb8f4ab, v115
	v_add_f32_e32 v76, v76, v75
	v_mul_f32_e32 v75, 0x3f3d2fb0, v107
	s_delay_alu instid0(VALU_DEP_1) | instskip(SKIP_2) | instid1(VALU_DEP_3)
	v_dual_add_f32 v78, v75, v136 :: v_dual_add_f32 v75, v77, v74
	v_fmamk_f32 v77, v98, 0x3f7ee86f, v124
	v_mul_f32_e32 v136, 0xbe8c1d8e, v122
	v_add_f32_e32 v74, v78, v76
	v_fmamk_f32 v76, v96, 0xbf65296c, v123
	v_fmamk_f32 v78, v102, 0x3eb8f4ab, v127
	v_fmac_f32_e32 v127, 0xbeb8f4ab, v102
	s_delay_alu instid0(VALU_DEP_3) | instskip(NEXT) | instid1(VALU_DEP_1)
	v_dual_fmac_f32 v123, 0x3f65296c, v96 :: v_dual_add_f32 v76, v76, v153
	v_dual_mul_f32 v153, 0xbe8c1d8e, v110 :: v_dual_add_f32 v76, v77, v76
	v_fmamk_f32 v77, v100, 0xbf4c4adb, v125
	v_fmac_f32_e32 v125, 0x3f4c4adb, v100
	s_delay_alu instid0(VALU_DEP_2) | instskip(NEXT) | instid1(VALU_DEP_1)
	v_dual_add_f32 v76, v77, v76 :: v_dual_fmamk_f32 v77, v95, 0x3ee437d1, v126
	v_dual_add_f32 v76, v78, v76 :: v_dual_add_f32 v77, v77, v154
	v_fmamk_f32 v78, v97, 0x3dbcf732, v128
	s_delay_alu instid0(VALU_DEP_1) | instskip(SKIP_1) | instid1(VALU_DEP_2)
	v_dual_mul_f32 v154, 0x3f6eb680, v112 :: v_dual_add_f32 v77, v78, v77
	v_fmamk_f32 v78, v104, 0x3e3c28d5, v129
	v_fmamk_f32 v79, v98, 0x3eb8f4ab, v154
	v_fmac_f32_e32 v129, 0xbe3c28d5, v104
	s_delay_alu instid0(VALU_DEP_3) | instskip(SKIP_1) | instid1(VALU_DEP_1)
	v_add_f32_e32 v76, v78, v76
	v_fmamk_f32 v78, v99, 0xbf1a4643, v130
	v_add_f32_e32 v77, v78, v77
	v_fmamk_f32 v78, v106, 0xbf2c7751, v131
	s_delay_alu instid0(VALU_DEP_1) | instskip(SKIP_1) | instid1(VALU_DEP_1)
	v_dual_fmac_f32 v131, 0x3f2c7751, v106 :: v_dual_add_f32 v76, v78, v76
	v_fmamk_f32 v78, v101, 0x3f6eb680, v132
	v_dual_add_f32 v77, v78, v77 :: v_dual_fmamk_f32 v78, v103, 0xbf7ba420, v133
	s_delay_alu instid0(VALU_DEP_1) | instskip(NEXT) | instid1(VALU_DEP_1)
	v_dual_add_f32 v77, v78, v77 :: v_dual_fmamk_f32 v78, v105, 0x3f3d2fb0, v135
	v_dual_add_f32 v78, v78, v77 :: v_dual_fmamk_f32 v77, v108, 0x3f763a35, v136
	s_delay_alu instid0(VALU_DEP_1) | instskip(NEXT) | instid1(VALU_DEP_1)
	v_dual_add_f32 v77, v77, v76 :: v_dual_fmamk_f32 v76, v107, 0xbe8c1d8e, v137
	v_add_f32_e32 v76, v76, v78
	v_fmamk_f32 v78, v96, 0xbf763a35, v153
	s_delay_alu instid0(VALU_DEP_1) | instskip(SKIP_1) | instid1(VALU_DEP_1)
	v_dual_fmac_f32 v153, 0x3f763a35, v96 :: v_dual_add_f32 v78, v78, v155
	v_mul_f32_e32 v155, 0xbf59a7d5, v114
	v_dual_add_f32 v78, v79, v78 :: v_dual_fmamk_f32 v79, v100, 0x3f06c442, v155
	s_delay_alu instid0(VALU_DEP_1) | instskip(SKIP_1) | instid1(VALU_DEP_1)
	v_dual_fmac_f32 v155, 0xbf06c442, v100 :: v_dual_add_f32 v78, v79, v78
	v_fmamk_f32 v79, v95, 0xbe8c1d8e, v157
	v_add_f32_e32 v79, v79, v80
	v_mul_f32_e32 v80, 0x3dbcf732, v116
	s_delay_alu instid0(VALU_DEP_1) | instskip(NEXT) | instid1(VALU_DEP_1)
	v_fmamk_f32 v158, v102, 0xbf7ee86f, v80
	v_add_f32_e32 v78, v158, v78
	v_mul_f32_e32 v158, 0xbeb8f4ab, v111
	s_delay_alu instid0(VALU_DEP_1) | instskip(NEXT) | instid1(VALU_DEP_1)
	;; [unrolled: 4-line block ×3, first 2 shown]
	v_fmamk_f32 v174, v104, 0x3f2c7751, v173
	v_dual_fmac_f32 v173, 0xbf2c7751, v104 :: v_dual_add_f32 v78, v174, v78
	v_mul_f32_e32 v174, 0xbf06c442, v113
	s_delay_alu instid0(VALU_DEP_1) | instskip(NEXT) | instid1(VALU_DEP_1)
	v_fmamk_f32 v175, v99, 0xbf59a7d5, v174
	v_add_f32_e32 v79, v175, v79
	v_mul_f32_e32 v175, 0xbf7ba420, v120
	v_fmac_f32_e32 v124, 0xbf7ee86f, v98
	s_delay_alu instid0(VALU_DEP_2) | instskip(SKIP_1) | instid1(VALU_DEP_2)
	v_fmamk_f32 v176, v106, 0x3e3c28d5, v175
	v_fmac_f32_e32 v175, 0xbe3c28d5, v106
	v_add_f32_e32 v78, v176, v78
	v_mul_f32_e32 v176, 0x3f7ee86f, v115
	s_delay_alu instid0(VALU_DEP_1) | instskip(NEXT) | instid1(VALU_DEP_1)
	v_fmamk_f32 v177, v101, 0x3dbcf732, v176
	v_add_f32_e32 v79, v177, v79
	v_mul_f32_e32 v177, 0xbf2c7751, v117
	s_delay_alu instid0(VALU_DEP_1) | instskip(NEXT) | instid1(VALU_DEP_1)
	v_fmamk_f32 v178, v103, 0x3f3d2fb0, v177
	;; [unrolled: 4-line block ×3, first 2 shown]
	v_add_f32_e32 v179, v179, v79
	v_fmamk_f32 v79, v108, 0xbf65296c, v180
	s_delay_alu instid0(VALU_DEP_1) | instskip(SKIP_1) | instid1(VALU_DEP_1)
	v_add_f32_e32 v79, v79, v78
	v_fmamk_f32 v78, v107, 0x3ee437d1, v181
	v_add_f32_e32 v78, v78, v179
	ds_store_2addr_b64 v90, v[74:75], v[70:71] offset0:4 offset1:5
	ds_store_2addr_b64 v90, v[78:79], v[76:77] offset0:6 offset1:7
	v_mul_f32_e32 v77, 0x3eb8f4ab, v109
	v_mul_f32_e32 v74, 0x3f6eb680, v110
	;; [unrolled: 1-line block ×6, first 2 shown]
	v_fmamk_f32 v70, v96, 0xbeb8f4ab, v74
	v_fmamk_f32 v71, v98, 0x3f06c442, v75
	v_fmac_f32_e32 v74, 0x3eb8f4ab, v96
	v_fmamk_f32 v79, v102, 0x3f4c4adb, v78
	s_delay_alu instid0(VALU_DEP_4) | instskip(SKIP_1) | instid1(VALU_DEP_4)
	v_dual_fmac_f32 v75, 0xbf06c442, v98 :: v_dual_add_f32 v70, v70, v147
	v_fmac_f32_e32 v78, 0xbf4c4adb, v102
	v_add_f32_e32 v74, v74, v83
	v_fma_f32 v83, 0x3ee437d1, v107, -v181
	s_delay_alu instid0(VALU_DEP_4) | instskip(NEXT) | instid1(VALU_DEP_3)
	v_dual_add_f32 v70, v71, v70 :: v_dual_fmamk_f32 v71, v100, 0xbf2c7751, v76
	v_add_f32_e32 v74, v75, v74
	v_fma_f32 v75, 0x3f6eb680, v95, -v77
	s_delay_alu instid0(VALU_DEP_3) | instskip(SKIP_1) | instid1(VALU_DEP_3)
	v_add_f32_e32 v70, v71, v70
	v_fmamk_f32 v71, v95, 0x3f6eb680, v77
	v_add_f32_e32 v75, v75, v160
	s_delay_alu instid0(VALU_DEP_3) | instskip(NEXT) | instid1(VALU_DEP_3)
	v_dual_add_f32 v70, v79, v70 :: v_dual_mul_f32 v79, 0xbf06c442, v111
	v_add_f32_e32 v71, v71, v152
	s_delay_alu instid0(VALU_DEP_2) | instskip(NEXT) | instid1(VALU_DEP_1)
	v_fmamk_f32 v109, v97, 0xbf59a7d5, v79
	v_add_f32_e32 v71, v109, v71
	v_mul_f32_e32 v109, 0x3ee437d1, v118
	s_delay_alu instid0(VALU_DEP_1) | instskip(NEXT) | instid1(VALU_DEP_1)
	v_fmamk_f32 v110, v104, 0xbf65296c, v109
	v_dual_fmac_f32 v109, 0x3f65296c, v104 :: v_dual_add_f32 v70, v110, v70
	v_mul_f32_e32 v110, 0x3f2c7751, v113
	s_delay_alu instid0(VALU_DEP_1) | instskip(NEXT) | instid1(VALU_DEP_1)
	v_fmamk_f32 v111, v99, 0x3f3d2fb0, v110
	v_dual_fmac_f32 v76, 0x3f2c7751, v100 :: v_dual_add_f32 v71, v111, v71
	v_mul_f32_e32 v111, 0xbe8c1d8e, v120
	v_fmac_f32_e32 v136, 0xbf763a35, v108
	s_delay_alu instid0(VALU_DEP_3) | instskip(SKIP_4) | instid1(VALU_DEP_4)
	v_add_f32_e32 v74, v76, v74
	v_fma_f32 v76, 0xbf59a7d5, v97, -v79
	v_fma_f32 v79, 0xbe8c1d8e, v107, -v137
	v_fmamk_f32 v112, v106, 0x3f763a35, v111
	v_fmac_f32_e32 v111, 0xbf763a35, v106
	v_dual_add_f32 v74, v78, v74 :: v_dual_add_f32 v75, v76, v75
	v_fma_f32 v76, 0x3f3d2fb0, v99, -v110
	s_delay_alu instid0(VALU_DEP_4) | instskip(SKIP_1) | instid1(VALU_DEP_4)
	v_add_f32_e32 v70, v112, v70
	v_mul_f32_e32 v112, 0xbf4c4adb, v115
	v_add_f32_e32 v74, v109, v74
	v_fma_f32 v78, 0x3dbcf732, v97, -v128
	v_add_f32_e32 v75, v76, v75
	s_delay_alu instid0(VALU_DEP_4) | instskip(SKIP_1) | instid1(VALU_DEP_2)
	v_fmamk_f32 v113, v101, 0xbf1a4643, v112
	v_fma_f32 v76, 0xbf1a4643, v101, -v112
	v_dual_add_f32 v74, v111, v74 :: v_dual_add_f32 v71, v113, v71
	v_mul_f32_e32 v113, 0x3f65296c, v117
	s_delay_alu instid0(VALU_DEP_3) | instskip(SKIP_2) | instid1(VALU_DEP_4)
	v_add_f32_e32 v75, v76, v75
	v_mul_f32_e32 v117, 0x3f7ee86f, v121
	v_fmac_f32_e32 v180, 0x3f65296c, v108
	v_fmamk_f32 v114, v103, 0x3ee437d1, v113
	v_fma_f32 v76, 0x3ee437d1, v103, -v113
	s_delay_alu instid0(VALU_DEP_4) | instskip(NEXT) | instid1(VALU_DEP_3)
	v_fma_f32 v77, 0x3dbcf732, v107, -v117
	v_add_f32_e32 v71, v114, v71
	v_mul_f32_e32 v114, 0xbf763a35, v119
	s_delay_alu instid0(VALU_DEP_4) | instskip(NEXT) | instid1(VALU_DEP_2)
	v_dual_add_f32 v75, v76, v75 :: v_dual_fmac_f32 v154, 0xbeb8f4ab, v98
	v_fmamk_f32 v115, v105, 0xbe8c1d8e, v114
	v_fma_f32 v76, 0xbe8c1d8e, v105, -v114
	s_delay_alu instid0(VALU_DEP_2) | instskip(SKIP_1) | instid1(VALU_DEP_3)
	v_add_f32_e32 v115, v115, v71
	v_fmamk_f32 v71, v108, 0xbf7ee86f, v116
	v_add_f32_e32 v76, v76, v75
	v_fmac_f32_e32 v116, 0x3f7ee86f, v108
	v_fmac_f32_e32 v80, 0x3f7ee86f, v102
	s_delay_alu instid0(VALU_DEP_4) | instskip(NEXT) | instid1(VALU_DEP_3)
	v_add_f32_e32 v71, v71, v70
	v_dual_add_f32 v75, v116, v74 :: v_dual_add_f32 v74, v77, v76
	v_fma_f32 v77, 0x3ee437d1, v95, -v126
	s_delay_alu instid0(VALU_DEP_1) | instskip(NEXT) | instid1(VALU_DEP_1)
	v_dual_add_f32 v76, v123, v161 :: v_dual_add_f32 v77, v77, v162
	v_dual_add_f32 v76, v124, v76 :: v_dual_add_f32 v77, v78, v77
	v_fma_f32 v78, 0xbf1a4643, v99, -v130
	s_delay_alu instid0(VALU_DEP_1) | instskip(SKIP_1) | instid1(VALU_DEP_1)
	v_dual_add_f32 v76, v125, v76 :: v_dual_add_f32 v77, v78, v77
	v_fma_f32 v78, 0x3f6eb680, v101, -v132
	v_dual_add_f32 v76, v127, v76 :: v_dual_add_f32 v77, v78, v77
	v_fma_f32 v78, 0xbf7ba420, v103, -v133
	s_delay_alu instid0(VALU_DEP_1) | instskip(SKIP_1) | instid1(VALU_DEP_2)
	v_dual_add_f32 v76, v129, v76 :: v_dual_add_f32 v77, v78, v77
	v_fma_f32 v78, 0x3f3d2fb0, v105, -v135
	v_add_f32_e32 v76, v131, v76
	s_delay_alu instid0(VALU_DEP_1) | instskip(NEXT) | instid1(VALU_DEP_1)
	v_dual_add_f32 v78, v78, v77 :: v_dual_add_f32 v77, v136, v76
	v_add_f32_e32 v76, v79, v78
	v_add_f32_e32 v78, v153, v163
	v_fma_f32 v79, 0xbe8c1d8e, v95, -v157
	s_delay_alu instid0(VALU_DEP_1) | instskip(NEXT) | instid1(VALU_DEP_1)
	v_dual_add_f32 v78, v154, v78 :: v_dual_add_f32 v79, v79, v164
	v_add_f32_e32 v78, v155, v78
	s_delay_alu instid0(VALU_DEP_1) | instskip(SKIP_1) | instid1(VALU_DEP_1)
	v_add_f32_e32 v78, v80, v78
	v_fma_f32 v80, 0x3f6eb680, v97, -v158
	v_add_f32_e32 v79, v80, v79
	v_fma_f32 v80, 0xbf59a7d5, v99, -v174
	s_delay_alu instid0(VALU_DEP_1) | instskip(NEXT) | instid1(VALU_DEP_1)
	v_dual_fmamk_f32 v70, v107, 0x3dbcf732, v117 :: v_dual_add_f32 v79, v80, v79
	v_add_f32_e32 v70, v70, v115
	v_fma_f32 v80, 0x3dbcf732, v101, -v176
	ds_store_2addr_b64 v90, v[70:71], v[74:75] offset0:8 offset1:9
	v_fma_f32 v70, 0xbf59a7d5, v95, -v156
	v_add_f32_e32 v79, v80, v79
	v_fma_f32 v80, 0x3f3d2fb0, v103, -v177
	s_delay_alu instid0(VALU_DEP_3) | instskip(SKIP_1) | instid1(VALU_DEP_3)
	v_dual_add_f32 v71, v148, v67 :: v_dual_add_f32 v68, v70, v68
	v_fma_f32 v70, 0x3f3d2fb0, v97, -v159
	v_add_f32_e32 v79, v80, v79
	v_fma_f32 v80, 0xbf7ba420, v105, -v178
	s_delay_alu instid0(VALU_DEP_3) | instskip(SKIP_1) | instid1(VALU_DEP_1)
	v_add_f32_e32 v68, v70, v68
	v_fma_f32 v70, 0x3ee437d1, v99, -v166
	v_add_f32_e32 v68, v70, v68
	v_fma_f32 v70, 0xbf7ba420, v101, -v167
	s_delay_alu instid0(VALU_DEP_1) | instskip(SKIP_1) | instid1(VALU_DEP_1)
	v_add_f32_e32 v68, v70, v68
	v_fma_f32 v70, 0x3dbcf732, v103, -v169
	v_add_f32_e32 v68, v70, v68
	v_fma_f32 v70, 0x3f6eb680, v105, -v170
	s_delay_alu instid0(VALU_DEP_1) | instskip(SKIP_1) | instid1(VALU_DEP_1)
	;; [unrolled: 5-line block ×3, first 2 shown]
	v_add_f32_e32 v61, v70, v61
	v_fma_f32 v70, 0xbf1a4643, v97, -v82
	v_dual_add_f32 v78, v173, v78 :: v_dual_add_f32 v61, v70, v61
	v_fma_f32 v70, 0xbf7ba420, v99, -v142
	s_delay_alu instid0(VALU_DEP_1) | instskip(SKIP_2) | instid1(VALU_DEP_3)
	v_dual_add_f32 v78, v175, v78 :: v_dual_add_f32 v61, v70, v61
	v_fma_f32 v70, 0xbf59a7d5, v101, -v143
	v_add_f32_e32 v80, v80, v79
	v_add_f32_e32 v79, v180, v78
	s_delay_alu instid0(VALU_DEP_3) | instskip(SKIP_1) | instid1(VALU_DEP_1)
	v_add_f32_e32 v61, v70, v61
	v_fma_f32 v70, 0xbe8c1d8e, v103, -v144
	v_dual_add_f32 v78, v83, v80 :: v_dual_add_f32 v61, v70, v61
	v_fma_f32 v70, 0x3ee437d1, v105, -v145
	s_delay_alu instid0(VALU_DEP_1) | instskip(SKIP_1) | instid1(VALU_DEP_1)
	v_add_f32_e32 v61, v70, v61
	v_fma_f32 v70, 0x3f6eb680, v107, -v149
	v_add_f32_e32 v70, v70, v61
	v_fma_f32 v61, 0x3f3d2fb0, v95, -v62
	s_delay_alu instid0(VALU_DEP_1) | instskip(NEXT) | instid1(VALU_DEP_1)
	v_add_f32_e32 v21, v61, v21
	v_add_f32_e32 v21, v57, v21
	s_delay_alu instid0(VALU_DEP_1) | instskip(NEXT) | instid1(VALU_DEP_1)
	v_add_f32_e32 v21, v56, v21
	v_add_f32_e32 v21, v52, v21
	s_delay_alu instid0(VALU_DEP_1) | instskip(SKIP_1) | instid1(VALU_DEP_2)
	v_add_f32_e32 v21, v23, v21
	v_fma_f32 v23, 0xbf7ba420, v107, -v64
	v_add_f32_e32 v22, v22, v21
	s_delay_alu instid0(VALU_DEP_1)
	v_dual_add_f32 v21, v58, v20 :: v_dual_add_f32 v20, v23, v22
	ds_store_2addr_b64 v90, v[76:77], v[78:79] offset0:10 offset1:11
	ds_store_2addr_b64 v90, v[68:69], v[54:55] offset0:12 offset1:13
	;; [unrolled: 1-line block ×3, first 2 shown]
	ds_store_b64 v90, v[20:21] offset:128
.LBB0_17:
	s_wait_alu 0xfffe
	s_or_b32 exec_lo, exec_lo, s1
	global_wb scope:SCOPE_SE
	s_wait_dscnt 0x0
	s_barrier_signal -1
	s_barrier_wait -1
	global_inv scope:SCOPE_SE
	ds_load_2addr_b64 v[57:60], v91 offset1:85
	ds_load_2addr_b64 v[61:64], v91 offset0:170 offset1:255
	v_add_nc_u32_e32 v20, 0x800, v91
	s_wait_dscnt 0x1
	v_dual_mul_f32 v69, v33, v60 :: v_dual_add_nc_u32 v56, 0x1800, v91
	s_wait_dscnt 0x0
	v_mul_f32_e32 v23, v35, v61
	ds_load_2addr_b64 v[65:68], v20 offset0:84 offset1:169
	v_add_nc_u32_e32 v20, 0xc00, v91
	v_dual_mul_f32 v22, v33, v59 :: v_dual_mul_f32 v33, v35, v62
	v_add_nc_u32_e32 v21, 0x1000, v91
	v_fmac_f32_e32 v69, v32, v59
	s_delay_alu instid0(VALU_DEP_3) | instskip(NEXT) | instid1(VALU_DEP_4)
	v_fmac_f32_e32 v33, v34, v61
	v_fma_f32 v32, v32, v60, -v22
	v_fma_f32 v34, v34, v62, -v23
	s_wait_dscnt 0x0
	v_mul_f32_e32 v22, v17, v68
	ds_load_b64 v[52:53], v91 offset:8160
	ds_load_2addr_b64 v[74:77], v20 offset0:126 offset1:211
	ds_load_2addr_b64 v[78:81], v21 offset0:168 offset1:253
	;; [unrolled: 1-line block ×3, first 2 shown]
	v_mul_f32_e32 v35, v29, v64
	v_mul_f32_e32 v29, v29, v63
	;; [unrolled: 1-line block ×3, first 2 shown]
	v_dual_mul_f32 v23, v31, v65 :: v_dual_fmac_f32 v22, v16, v67
	s_delay_alu instid0(VALU_DEP_4) | instskip(NEXT) | instid1(VALU_DEP_4)
	v_fmac_f32_e32 v35, v28, v63
	v_fma_f32 v28, v28, v64, -v29
	v_mul_f32_e32 v29, v17, v67
	v_fmac_f32_e32 v59, v30, v65
	v_fma_f32 v30, v30, v66, -v23
	v_add_f32_e32 v31, v58, v32
	global_wb scope:SCOPE_SE
	s_wait_dscnt 0x0
	v_fma_f32 v23, v16, v68, -v29
	s_barrier_signal -1
	s_barrier_wait -1
	global_inv scope:SCOPE_SE
	v_mul_f32_e32 v17, v19, v75
	v_dual_mul_f32 v19, v19, v74 :: v_dual_mul_f32 v16, v9, v77
	v_add_f32_e32 v29, v57, v69
	v_mul_f32_e32 v9, v9, v76
	s_delay_alu instid0(VALU_DEP_4) | instskip(NEXT) | instid1(VALU_DEP_4)
	v_fmac_f32_e32 v17, v18, v74
	v_fma_f32 v18, v18, v75, -v19
	s_delay_alu instid0(VALU_DEP_4) | instskip(SKIP_4) | instid1(VALU_DEP_4)
	v_dual_fmac_f32 v16, v8, v76 :: v_dual_add_f32 v19, v29, v33
	v_add_f32_e32 v29, v31, v34
	v_mul_f32_e32 v31, v11, v79
	v_fma_f32 v8, v8, v77, -v9
	v_mul_f32_e32 v9, v11, v78
	v_add_f32_e32 v29, v29, v28
	s_delay_alu instid0(VALU_DEP_4) | instskip(NEXT) | instid1(VALU_DEP_3)
	v_fmac_f32_e32 v31, v10, v78
	v_fma_f32 v9, v10, v79, -v9
	v_dual_mul_f32 v10, v25, v80 :: v_dual_add_f32 v19, v19, v35
	s_delay_alu instid0(VALU_DEP_1) | instskip(NEXT) | instid1(VALU_DEP_2)
	v_fma_f32 v10, v24, v81, -v10
	v_add_f32_e32 v11, v19, v59
	v_add_f32_e32 v19, v29, v30
	v_mul_f32_e32 v29, v25, v81
	v_mul_f32_e32 v25, v27, v96
	s_delay_alu instid0(VALU_DEP_2) | instskip(NEXT) | instid1(VALU_DEP_2)
	v_dual_fmac_f32 v29, v24, v80 :: v_dual_mul_f32 v24, v27, v95
	v_fmac_f32_e32 v25, v26, v95
	v_mul_f32_e32 v27, v13, v98
	v_mul_f32_e32 v13, v13, v97
	s_delay_alu instid0(VALU_DEP_4) | instskip(SKIP_2) | instid1(VALU_DEP_2)
	v_fma_f32 v24, v26, v96, -v24
	v_mul_f32_e32 v26, v15, v52
	v_mul_f32_e32 v15, v15, v53
	v_fma_f32 v26, v14, v53, -v26
	s_delay_alu instid0(VALU_DEP_2) | instskip(SKIP_1) | instid1(VALU_DEP_3)
	v_fmac_f32_e32 v15, v14, v52
	v_fma_f32 v52, v12, v98, -v13
	v_sub_f32_e32 v14, v32, v26
	v_add_f32_e32 v32, v32, v26
	s_delay_alu instid0(VALU_DEP_4) | instskip(NEXT) | instid1(VALU_DEP_4)
	v_sub_f32_e32 v60, v69, v15
	v_sub_f32_e32 v80, v34, v52
	v_add_f32_e32 v34, v34, v52
	v_mul_f32_e32 v68, 0xbf6f5d39, v14
	v_dual_mul_f32 v76, 0xbf3f9e67, v32 :: v_dual_add_f32 v19, v19, v23
	v_mul_f32_e32 v65, 0xbf7e222b, v14
	v_mul_f32_e32 v75, 0xbf29c268, v14
	;; [unrolled: 1-line block ×3, first 2 shown]
	s_delay_alu instid0(VALU_DEP_4) | instskip(SKIP_1) | instid1(VALU_DEP_2)
	v_dual_fmamk_f32 v78, v60, 0x3f29c268, v76 :: v_dual_add_f32 v19, v19, v18
	v_dual_fmac_f32 v76, 0xbf29c268, v60 :: v_dual_fmac_f32 v27, v12, v97
	v_dual_mul_f32 v83, 0xbf52af12, v80 :: v_dual_add_f32 v78, v58, v78
	v_mul_f32_e32 v67, 0x3df6dbef, v32
	s_delay_alu instid0(VALU_DEP_3) | instskip(NEXT) | instid1(VALU_DEP_4)
	v_add_f32_e32 v76, v58, v76
	v_dual_add_f32 v19, v19, v8 :: v_dual_add_f32 v82, v33, v27
	s_delay_alu instid0(VALU_DEP_1) | instskip(NEXT) | instid1(VALU_DEP_1)
	v_add_f32_e32 v19, v19, v9
	v_add_f32_e32 v19, v19, v10
	s_delay_alu instid0(VALU_DEP_1) | instskip(NEXT) | instid1(VALU_DEP_1)
	v_dual_add_f32 v12, v19, v24 :: v_dual_add_f32 v19, v69, v15
	v_dual_add_f32 v13, v12, v52 :: v_dual_fmamk_f32 v70, v19, 0xbeb58ec6, v68
	v_fma_f32 v68, 0xbeb58ec6, v19, -v68
	v_add_f32_e32 v11, v11, v22
	v_fmamk_f32 v66, v19, 0x3df6dbef, v65
	v_fma_f32 v65, 0x3df6dbef, v19, -v65
	v_add_f32_e32 v13, v13, v26
	s_delay_alu instid0(VALU_DEP_4) | instskip(NEXT) | instid1(VALU_DEP_3)
	v_dual_add_f32 v68, v57, v68 :: v_dual_add_f32 v11, v11, v17
	v_dual_mul_f32 v26, 0xbf52af12, v14 :: v_dual_add_f32 v65, v57, v65
	v_mul_f32_e32 v53, 0xbeedf032, v14
	s_delay_alu instid0(VALU_DEP_3) | instskip(NEXT) | instid1(VALU_DEP_3)
	v_dual_mul_f32 v14, 0xbe750f2a, v14 :: v_dual_add_f32 v11, v11, v16
	v_dual_add_f32 v70, v57, v70 :: v_dual_fmamk_f32 v63, v19, 0x3f116cb1, v26
	v_fma_f32 v26, 0x3f116cb1, v19, -v26
	s_delay_alu instid0(VALU_DEP_3) | instskip(NEXT) | instid1(VALU_DEP_4)
	v_fmamk_f32 v79, v19, 0xbf788fa5, v14
	v_add_f32_e32 v11, v11, v31
	v_fma_f32 v14, 0xbf788fa5, v19, -v14
	s_delay_alu instid0(VALU_DEP_4) | instskip(SKIP_1) | instid1(VALU_DEP_4)
	v_dual_fmamk_f32 v77, v19, 0xbf3f9e67, v75 :: v_dual_add_f32 v26, v57, v26
	v_fmamk_f32 v61, v19, 0x3f62ad3f, v53
	v_add_f32_e32 v11, v11, v29
	v_add_f32_e32 v79, v57, v79
	v_fmamk_f32 v69, v60, 0x3f7e222b, v67
	v_dual_fmac_f32 v67, 0xbf7e222b, v60 :: v_dual_add_f32 v14, v57, v14
	s_delay_alu instid0(VALU_DEP_4) | instskip(SKIP_2) | instid1(VALU_DEP_4)
	v_add_f32_e32 v11, v11, v25
	v_mul_f32_e32 v71, 0xbeb58ec6, v32
	v_fma_f32 v53, 0x3f62ad3f, v19, -v53
	v_add_f32_e32 v67, v58, v67
	v_fma_f32 v75, 0xbf3f9e67, v19, -v75
	s_delay_alu instid0(VALU_DEP_4) | instskip(SKIP_2) | instid1(VALU_DEP_3)
	v_dual_add_f32 v11, v11, v27 :: v_dual_fmamk_f32 v74, v60, 0x3f6f5d39, v71
	v_sub_f32_e32 v19, v33, v27
	v_fmac_f32_e32 v71, 0xbf6f5d39, v60
	v_dual_add_f32 v77, v57, v77 :: v_dual_add_f32 v12, v11, v15
	v_add_f32_e32 v11, v57, v61
	v_mul_f32_e32 v61, 0x3f116cb1, v32
	v_mul_f32_e32 v32, 0xbf788fa5, v32
	v_dual_add_f32 v74, v58, v74 :: v_dual_fmamk_f32 v15, v60, 0x3eedf032, v62
	v_fmac_f32_e32 v62, 0xbeedf032, v60
	s_delay_alu instid0(VALU_DEP_4)
	v_fmamk_f32 v64, v60, 0x3f52af12, v61
	v_fmac_f32_e32 v61, 0xbf52af12, v60
	v_fmamk_f32 v81, v60, 0x3e750f2a, v32
	v_dual_fmac_f32 v32, 0xbe750f2a, v60 :: v_dual_add_f32 v53, v57, v53
	v_add_f32_e32 v62, v58, v62
	v_add_f32_e32 v64, v58, v64
	;; [unrolled: 1-line block ×7, first 2 shown]
	v_mul_f32_e32 v60, 0xbeb58ec6, v34
	v_mul_f32_e32 v81, 0xbf3f9e67, v34
	v_add_f32_e32 v15, v58, v15
	v_fma_f32 v58, 0x3f116cb1, v82, -v83
	v_fmamk_f32 v27, v82, 0x3f116cb1, v83
	v_mul_f32_e32 v33, 0x3f116cb1, v34
	v_add_f32_e32 v63, v57, v63
	s_delay_alu instid0(VALU_DEP_4)
	v_dual_add_f32 v66, v57, v66 :: v_dual_add_f32 v53, v58, v53
	v_fmamk_f32 v58, v19, 0x3f6f5d39, v60
	v_add_f32_e32 v11, v27, v11
	v_fmamk_f32 v27, v19, 0x3f52af12, v33
	v_fmac_f32_e32 v33, 0xbf52af12, v19
	v_fmac_f32_e32 v60, 0xbf6f5d39, v19
	v_dual_add_f32 v58, v58, v64 :: v_dual_add_f32 v75, v57, v75
	v_mul_f32_e32 v57, 0xbf6f5d39, v80
	v_add_f32_e32 v15, v27, v15
	v_dual_add_f32 v33, v33, v62 :: v_dual_mul_f32 v62, 0xbe750f2a, v80
	v_mul_f32_e32 v64, 0xbf788fa5, v34
	s_delay_alu instid0(VALU_DEP_4) | instskip(SKIP_1) | instid1(VALU_DEP_2)
	v_fmamk_f32 v27, v82, 0xbeb58ec6, v57
	v_fma_f32 v57, 0xbeb58ec6, v82, -v57
	v_add_f32_e32 v27, v27, v63
	s_delay_alu instid0(VALU_DEP_2) | instskip(SKIP_2) | instid1(VALU_DEP_3)
	v_dual_fmamk_f32 v63, v82, 0xbf788fa5, v62 :: v_dual_add_f32 v26, v57, v26
	v_dual_add_f32 v57, v60, v61 :: v_dual_mul_f32 v60, 0x3f29c268, v80
	v_fma_f32 v62, 0xbf788fa5, v82, -v62
	v_add_f32_e32 v61, v63, v66
	v_fmamk_f32 v63, v19, 0x3e750f2a, v64
	v_fmac_f32_e32 v64, 0xbe750f2a, v19
	v_fmamk_f32 v66, v82, 0xbf3f9e67, v60
	v_add_f32_e32 v62, v62, v65
	v_fma_f32 v60, 0xbf3f9e67, v82, -v60
	s_delay_alu instid0(VALU_DEP_4) | instskip(NEXT) | instid1(VALU_DEP_4)
	v_dual_add_f32 v63, v63, v69 :: v_dual_add_f32 v64, v64, v67
	v_dual_add_f32 v65, v66, v70 :: v_dual_fmamk_f32 v66, v19, 0xbf29c268, v81
	v_mul_f32_e32 v67, 0x3f7e222b, v80
	s_delay_alu instid0(VALU_DEP_4) | instskip(SKIP_1) | instid1(VALU_DEP_4)
	v_dual_mul_f32 v69, 0x3df6dbef, v34 :: v_dual_add_f32 v60, v60, v68
	v_mul_f32_e32 v34, 0x3f62ad3f, v34
	v_add_f32_e32 v66, v66, v74
	s_delay_alu instid0(VALU_DEP_4) | instskip(SKIP_3) | instid1(VALU_DEP_4)
	v_fmamk_f32 v70, v82, 0x3df6dbef, v67
	v_mul_f32_e32 v74, 0x3eedf032, v80
	v_fma_f32 v67, 0x3df6dbef, v82, -v67
	v_fmamk_f32 v68, v19, 0xbf7e222b, v69
	v_dual_fmac_f32 v69, 0x3f7e222b, v19 :: v_dual_add_f32 v70, v70, v77
	s_delay_alu instid0(VALU_DEP_4) | instskip(NEXT) | instid1(VALU_DEP_4)
	v_fmamk_f32 v77, v82, 0x3f62ad3f, v74
	v_add_f32_e32 v67, v67, v75
	v_sub_f32_e32 v75, v28, v24
	s_delay_alu instid0(VALU_DEP_4) | instskip(NEXT) | instid1(VALU_DEP_4)
	v_dual_add_f32 v68, v68, v78 :: v_dual_add_f32 v69, v69, v76
	v_dual_add_f32 v76, v77, v79 :: v_dual_fmamk_f32 v77, v19, 0xbeedf032, v34
	s_delay_alu instid0(VALU_DEP_3) | instskip(SKIP_4) | instid1(VALU_DEP_4)
	v_dual_add_f32 v78, v35, v25 :: v_dual_mul_f32 v79, 0xbf7e222b, v75
	v_add_f32_e32 v24, v28, v24
	v_fma_f32 v28, 0x3f62ad3f, v82, -v74
	v_fmac_f32_e32 v34, 0x3eedf032, v19
	v_add_f32_e32 v52, v77, v52
	v_mul_f32_e32 v74, 0xbf788fa5, v24
	s_delay_alu instid0(VALU_DEP_4) | instskip(NEXT) | instid1(VALU_DEP_4)
	v_add_f32_e32 v14, v28, v14
	v_add_f32_e32 v28, v34, v32
	v_fma_f32 v34, 0x3df6dbef, v78, -v79
	v_mul_f32_e32 v32, 0xbe750f2a, v75
	s_delay_alu instid0(VALU_DEP_2)
	v_dual_mul_f32 v77, 0x3f62ad3f, v24 :: v_dual_add_f32 v34, v34, v53
	v_fmac_f32_e32 v81, 0x3f29c268, v19
	v_sub_f32_e32 v19, v35, v25
	v_fmamk_f32 v25, v78, 0x3df6dbef, v79
	v_mul_f32_e32 v35, 0x3df6dbef, v24
	v_mul_f32_e32 v53, 0x3f6f5d39, v75
	s_delay_alu instid0(VALU_DEP_3) | instskip(NEXT) | instid1(VALU_DEP_3)
	v_add_f32_e32 v11, v25, v11
	v_fmamk_f32 v25, v19, 0x3f7e222b, v35
	v_fmac_f32_e32 v35, 0xbf7e222b, v19
	s_delay_alu instid0(VALU_DEP_2) | instskip(SKIP_1) | instid1(VALU_DEP_3)
	v_add_f32_e32 v15, v25, v15
	v_fmamk_f32 v25, v78, 0xbf788fa5, v32
	v_add_f32_e32 v33, v35, v33
	v_fmamk_f32 v35, v19, 0x3e750f2a, v74
	v_fmac_f32_e32 v74, 0xbe750f2a, v19
	s_delay_alu instid0(VALU_DEP_4) | instskip(SKIP_1) | instid1(VALU_DEP_4)
	v_add_f32_e32 v25, v25, v27
	v_fma_f32 v27, 0xbf788fa5, v78, -v32
	v_dual_add_f32 v32, v35, v58 :: v_dual_fmamk_f32 v35, v78, 0xbeb58ec6, v53
	v_mul_f32_e32 v58, 0xbeb58ec6, v24
	v_fma_f32 v53, 0xbeb58ec6, v78, -v53
	s_delay_alu instid0(VALU_DEP_4) | instskip(NEXT) | instid1(VALU_DEP_4)
	v_add_f32_e32 v26, v27, v26
	v_add_f32_e32 v35, v35, v61
	s_delay_alu instid0(VALU_DEP_4) | instskip(SKIP_2) | instid1(VALU_DEP_2)
	v_fmamk_f32 v61, v19, 0xbf6f5d39, v58
	v_dual_fmac_f32 v58, 0x3f6f5d39, v19 :: v_dual_add_f32 v27, v74, v57
	v_mul_f32_e32 v57, 0x3eedf032, v75
	v_dual_add_f32 v53, v53, v62 :: v_dual_add_f32 v58, v58, v64
	s_delay_alu instid0(VALU_DEP_2) | instskip(SKIP_1) | instid1(VALU_DEP_2)
	v_fmamk_f32 v74, v78, 0x3f62ad3f, v57
	v_fma_f32 v57, 0x3f62ad3f, v78, -v57
	v_dual_add_f32 v62, v74, v65 :: v_dual_mul_f32 v65, 0x3f116cb1, v24
	s_delay_alu instid0(VALU_DEP_2) | instskip(SKIP_1) | instid1(VALU_DEP_3)
	v_add_f32_e32 v57, v57, v60
	v_mul_f32_e32 v24, 0xbf3f9e67, v24
	v_fmamk_f32 v60, v19, 0x3f52af12, v65
	v_fmac_f32_e32 v65, 0xbf52af12, v19
	v_mul_f32_e32 v64, 0xbf52af12, v75
	v_mul_f32_e32 v74, 0xbf29c268, v75
	s_delay_alu instid0(VALU_DEP_3)
	v_dual_add_f32 v60, v60, v68 :: v_dual_add_f32 v65, v65, v69
	v_fmamk_f32 v69, v19, 0x3f29c268, v24
	v_fmac_f32_e32 v24, 0xbf29c268, v19
	v_add_f32_e32 v61, v61, v63
	v_fmamk_f32 v63, v19, 0xbeedf032, v77
	v_fmamk_f32 v68, v78, 0xbf3f9e67, v74
	v_add_f32_e32 v52, v69, v52
	s_delay_alu instid0(VALU_DEP_3) | instskip(SKIP_3) | instid1(VALU_DEP_3)
	v_dual_add_f32 v24, v24, v28 :: v_dual_add_f32 v63, v63, v66
	v_fmamk_f32 v66, v78, 0x3f116cb1, v64
	v_fma_f32 v64, 0x3f116cb1, v78, -v64
	v_add_f32_e32 v68, v68, v76
	v_add_f32_e32 v66, v66, v70
	s_delay_alu instid0(VALU_DEP_3) | instskip(SKIP_3) | instid1(VALU_DEP_4)
	v_dual_add_f32 v64, v64, v67 :: v_dual_sub_f32 v67, v30, v10
	v_add_f32_e32 v70, v59, v29
	v_add_f32_e32 v10, v30, v10
	v_fma_f32 v30, 0xbf3f9e67, v78, -v74
	v_mul_f32_e32 v75, 0xbf6f5d39, v67
	s_delay_alu instid0(VALU_DEP_3) | instskip(SKIP_2) | instid1(VALU_DEP_4)
	v_mul_f32_e32 v74, 0x3df6dbef, v10
	v_fmac_f32_e32 v77, 0x3eedf032, v19
	v_sub_f32_e32 v19, v59, v29
	v_fmamk_f32 v29, v70, 0xbeb58ec6, v75
	v_mul_f32_e32 v59, 0xbeb58ec6, v10
	v_add_f32_e32 v14, v30, v14
	v_fma_f32 v30, 0xbeb58ec6, v70, -v75
	v_mul_f32_e32 v69, 0xbf3f9e67, v10
	s_delay_alu instid0(VALU_DEP_4) | instskip(SKIP_1) | instid1(VALU_DEP_4)
	v_dual_add_f32 v11, v29, v11 :: v_dual_fmamk_f32 v28, v19, 0x3f6f5d39, v59
	v_mul_f32_e32 v29, 0x3f29c268, v67
	v_dual_fmac_f32 v59, 0xbf6f5d39, v19 :: v_dual_add_f32 v30, v30, v34
	s_delay_alu instid0(VALU_DEP_4) | instskip(NEXT) | instid1(VALU_DEP_3)
	v_dual_add_f32 v71, v81, v71 :: v_dual_fmamk_f32 v34, v19, 0xbf29c268, v69
	v_dual_add_f32 v15, v28, v15 :: v_dual_fmamk_f32 v28, v70, 0xbf3f9e67, v29
	s_delay_alu instid0(VALU_DEP_3) | instskip(SKIP_2) | instid1(VALU_DEP_4)
	v_add_f32_e32 v33, v59, v33
	v_mul_f32_e32 v59, 0x3eedf032, v67
	v_fmac_f32_e32 v69, 0x3f29c268, v19
	v_add_f32_e32 v25, v28, v25
	v_fma_f32 v28, 0xbf3f9e67, v70, -v29
	v_add_f32_e32 v29, v34, v32
	v_fmamk_f32 v32, v70, 0x3f62ad3f, v59
	v_mul_f32_e32 v34, 0x3f62ad3f, v10
	v_fma_f32 v59, 0x3f62ad3f, v70, -v59
	v_add_f32_e32 v26, v28, v26
	v_mul_f32_e32 v28, 0xbf7e222b, v67
	s_delay_alu instid0(VALU_DEP_4) | instskip(NEXT) | instid1(VALU_DEP_4)
	v_dual_add_f32 v32, v32, v35 :: v_dual_fmamk_f32 v35, v19, 0xbeedf032, v34
	v_dual_fmac_f32 v34, 0x3eedf032, v19 :: v_dual_add_f32 v53, v59, v53
	v_fmamk_f32 v59, v19, 0x3f7e222b, v74
	v_fmac_f32_e32 v74, 0xbf7e222b, v19
	v_add_f32_e32 v27, v69, v27
	v_fmamk_f32 v69, v70, 0x3df6dbef, v28
	v_dual_add_f32 v35, v35, v61 :: v_dual_add_f32 v34, v34, v58
	v_mul_f32_e32 v61, 0x3e750f2a, v67
	v_fma_f32 v28, 0x3df6dbef, v70, -v28
	s_delay_alu instid0(VALU_DEP_4) | instskip(SKIP_1) | instid1(VALU_DEP_3)
	v_add_f32_e32 v58, v69, v62
	v_dual_mul_f32 v62, 0xbf788fa5, v10 :: v_dual_add_f32 v59, v59, v63
	v_dual_fmamk_f32 v63, v70, 0xbf788fa5, v61 :: v_dual_add_f32 v28, v28, v57
	v_mul_f32_e32 v67, 0x3f52af12, v67
	s_delay_alu instid0(VALU_DEP_3) | instskip(SKIP_1) | instid1(VALU_DEP_4)
	v_fmamk_f32 v57, v19, 0xbe750f2a, v62
	v_fma_f32 v61, 0xbf788fa5, v70, -v61
	v_dual_add_f32 v63, v63, v66 :: v_dual_fmac_f32 v62, 0x3e750f2a, v19
	s_delay_alu instid0(VALU_DEP_3) | instskip(NEXT) | instid1(VALU_DEP_3)
	v_dual_mul_f32 v10, 0x3f116cb1, v10 :: v_dual_add_f32 v57, v57, v60
	v_dual_fmamk_f32 v60, v70, 0x3f116cb1, v67 :: v_dual_add_f32 v61, v61, v64
	v_sub_f32_e32 v64, v23, v9
	v_dual_add_f32 v66, v22, v31 :: v_dual_add_f32 v9, v23, v9
	s_delay_alu instid0(VALU_DEP_3) | instskip(SKIP_1) | instid1(VALU_DEP_4)
	v_add_f32_e32 v60, v60, v68
	v_add_f32_e32 v62, v62, v65
	v_mul_f32_e32 v68, 0xbf29c268, v64
	v_fmamk_f32 v65, v19, 0xbf52af12, v10
	v_fma_f32 v23, 0x3f116cb1, v70, -v67
	v_fmac_f32_e32 v10, 0x3f52af12, v19
	v_sub_f32_e32 v19, v22, v31
	v_dual_fmamk_f32 v22, v66, 0xbf3f9e67, v68 :: v_dual_mul_f32 v31, 0xbf3f9e67, v9
	v_add_f32_e32 v52, v65, v52
	v_add_f32_e32 v14, v23, v14
	;; [unrolled: 1-line block ×3, first 2 shown]
	s_delay_alu instid0(VALU_DEP_4)
	v_dual_add_f32 v11, v22, v11 :: v_dual_fmamk_f32 v22, v19, 0x3f29c268, v31
	v_mul_f32_e32 v23, 0x3f7e222b, v64
	v_fma_f32 v24, 0xbf3f9e67, v66, -v68
	v_fmac_f32_e32 v31, 0xbf29c268, v19
	v_mul_f32_e32 v65, 0x3df6dbef, v9
	v_add_f32_e32 v15, v22, v15
	v_fmamk_f32 v22, v66, 0x3df6dbef, v23
	v_add_f32_e32 v24, v24, v30
	v_add_f32_e32 v30, v31, v33
	v_fmamk_f32 v31, v19, 0xbf7e222b, v65
	v_mul_f32_e32 v33, 0xbf52af12, v64
	v_fma_f32 v23, 0x3df6dbef, v66, -v23
	v_dual_fmac_f32 v65, 0x3f7e222b, v19 :: v_dual_add_f32 v22, v22, v25
	s_delay_alu instid0(VALU_DEP_4) | instskip(NEXT) | instid1(VALU_DEP_4)
	v_add_f32_e32 v25, v31, v29
	v_fmamk_f32 v29, v66, 0x3f116cb1, v33
	v_mul_f32_e32 v31, 0x3f116cb1, v9
	s_delay_alu instid0(VALU_DEP_4) | instskip(SKIP_1) | instid1(VALU_DEP_3)
	v_dual_add_f32 v23, v23, v26 :: v_dual_add_f32 v26, v65, v27
	v_mul_f32_e32 v27, 0x3e750f2a, v64
	v_dual_add_f32 v29, v29, v32 :: v_dual_fmamk_f32 v32, v19, 0x3f52af12, v31
	v_fmac_f32_e32 v31, 0xbf52af12, v19
	v_fma_f32 v33, 0x3f116cb1, v66, -v33
	s_delay_alu instid0(VALU_DEP_4)
	v_fmamk_f32 v65, v66, 0xbf788fa5, v27
	v_fma_f32 v27, 0xbf788fa5, v66, -v27
	v_mul_f32_e32 v67, 0xbf788fa5, v9
	v_add_f32_e32 v31, v31, v34
	v_add_f32_e32 v33, v33, v53
	;; [unrolled: 1-line block ×3, first 2 shown]
	v_dual_add_f32 v71, v77, v71 :: v_dual_mul_f32 v58, 0x3f62ad3f, v9
	v_mul_f32_e32 v53, 0x3eedf032, v64
	v_add_f32_e32 v27, v27, v28
	v_mul_f32_e32 v64, 0xbf6f5d39, v64
	v_add_f32_e32 v32, v32, v35
	v_fmamk_f32 v28, v19, 0xbeedf032, v58
	v_fmamk_f32 v35, v19, 0xbe750f2a, v67
	v_fmac_f32_e32 v67, 0x3e750f2a, v19
	v_fmac_f32_e32 v58, 0x3eedf032, v19
	v_mul_f32_e32 v9, 0xbeb58ec6, v9
	v_dual_add_f32 v28, v28, v57 :: v_dual_fmamk_f32 v57, v66, 0xbeb58ec6, v64
	v_add_f32_e32 v35, v35, v59
	v_fmamk_f32 v59, v66, 0x3f62ad3f, v53
	v_fma_f32 v53, 0x3f62ad3f, v66, -v53
	s_delay_alu instid0(VALU_DEP_4) | instskip(SKIP_1) | instid1(VALU_DEP_4)
	v_dual_add_f32 v58, v58, v62 :: v_dual_add_f32 v57, v57, v60
	v_dual_add_f32 v60, v17, v16 :: v_dual_add_f32 v69, v74, v71
	v_add_f32_e32 v59, v59, v63
	v_sub_f32_e32 v63, v18, v8
	v_add_f32_e32 v61, v53, v61
	v_fmamk_f32 v53, v19, 0x3f6f5d39, v9
	v_add_f32_e32 v65, v67, v69
	s_delay_alu instid0(VALU_DEP_4) | instskip(SKIP_2) | instid1(VALU_DEP_3)
	v_dual_add_f32 v67, v18, v8 :: v_dual_mul_f32 v62, 0xbe750f2a, v63
	v_fma_f32 v8, 0xbeb58ec6, v66, -v64
	v_dual_fmac_f32 v9, 0xbf6f5d39, v19 :: v_dual_sub_f32 v64, v17, v16
	v_dual_mul_f32 v17, 0xbf788fa5, v67 :: v_dual_fmamk_f32 v16, v60, 0xbf788fa5, v62
	s_delay_alu instid0(VALU_DEP_3) | instskip(NEXT) | instid1(VALU_DEP_3)
	v_add_f32_e32 v68, v8, v14
	v_add_f32_e32 v69, v9, v10
	v_mul_f32_e32 v9, 0x3eedf032, v63
	s_delay_alu instid0(VALU_DEP_4) | instskip(SKIP_3) | instid1(VALU_DEP_4)
	v_fmamk_f32 v8, v64, 0x3e750f2a, v17
	v_add_f32_e32 v14, v16, v11
	v_fma_f32 v10, 0xbf788fa5, v60, -v62
	v_dual_mul_f32 v11, 0x3f62ad3f, v67 :: v_dual_add_f32 v66, v53, v52
	v_add_f32_e32 v15, v8, v15
	v_fmamk_f32 v8, v60, 0x3f62ad3f, v9
	v_fmac_f32_e32 v17, 0xbe750f2a, v64
	v_add_f32_e32 v52, v10, v24
	v_fmamk_f32 v10, v64, 0xbeedf032, v11
	s_delay_alu instid0(VALU_DEP_4)
	v_dual_mul_f32 v19, 0xbf29c268, v63 :: v_dual_add_f32 v16, v8, v22
	v_fma_f32 v8, 0x3f62ad3f, v60, -v9
	v_add_f32_e32 v53, v17, v30
	v_fmac_f32_e32 v11, 0x3eedf032, v64
	v_add_f32_e32 v17, v10, v25
	v_dual_fmamk_f32 v9, v60, 0xbf3f9e67, v19 :: v_dual_mul_f32 v22, 0xbf3f9e67, v67
	v_add_f32_e32 v10, v8, v23
	v_mul_f32_e32 v23, 0x3f52af12, v63
	s_delay_alu instid0(VALU_DEP_3) | instskip(NEXT) | instid1(VALU_DEP_4)
	v_dual_add_f32 v11, v11, v26 :: v_dual_add_f32 v18, v9, v29
	v_fmamk_f32 v8, v64, 0x3f29c268, v22
	v_fma_f32 v9, 0xbf3f9e67, v60, -v19
	s_delay_alu instid0(VALU_DEP_4) | instskip(SKIP_3) | instid1(VALU_DEP_3)
	v_fmamk_f32 v24, v60, 0x3f116cb1, v23
	v_fmac_f32_e32 v22, 0xbf29c268, v64
	v_mul_f32_e32 v25, 0x3f116cb1, v67
	v_dual_mul_f32 v26, 0xbf6f5d39, v63 :: v_dual_add_f32 v19, v8, v32
	v_dual_add_f32 v8, v9, v33 :: v_dual_add_f32 v9, v22, v31
	v_add_f32_e32 v22, v24, v34
	s_delay_alu instid0(VALU_DEP_4) | instskip(SKIP_3) | instid1(VALU_DEP_4)
	v_fmamk_f32 v24, v64, 0xbf52af12, v25
	v_fma_f32 v29, 0x3f116cb1, v60, -v23
	v_dual_fmamk_f32 v31, v60, 0xbeb58ec6, v26 :: v_dual_mul_f32 v30, 0xbeb58ec6, v67
	v_mul_f32_e32 v33, 0x3df6dbef, v67
	v_add_f32_e32 v23, v24, v35
	s_delay_alu instid0(VALU_DEP_4)
	v_add_f32_e32 v24, v29, v27
	v_fma_f32 v29, 0xbeb58ec6, v60, -v26
	v_add_f32_e32 v26, v31, v59
	v_mul_f32_e32 v31, 0x3f7e222b, v63
	v_fmamk_f32 v27, v64, 0x3f6f5d39, v30
	v_fmac_f32_e32 v30, 0xbf6f5d39, v64
	v_fmamk_f32 v34, v64, 0xbf7e222b, v33
	v_fmac_f32_e32 v33, 0x3f7e222b, v64
	v_fmamk_f32 v32, v60, 0x3df6dbef, v31
	v_fma_f32 v35, 0x3df6dbef, v60, -v31
	v_fmac_f32_e32 v25, 0x3f52af12, v64
	v_dual_add_f32 v27, v27, v28 :: v_dual_add_f32 v28, v29, v61
	s_delay_alu instid0(VALU_DEP_4) | instskip(NEXT) | instid1(VALU_DEP_4)
	v_dual_add_f32 v29, v30, v58 :: v_dual_add_f32 v30, v32, v57
	v_dual_add_f32 v31, v34, v66 :: v_dual_add_f32 v32, v35, v68
	v_add_f32_e32 v33, v33, v69
	v_add_f32_e32 v25, v25, v65
	ds_store_2addr_b64 v93, v[12:13], v[14:15] offset1:17
	ds_store_2addr_b64 v93, v[16:17], v[18:19] offset0:34 offset1:51
	ds_store_2addr_b64 v93, v[22:23], v[26:27] offset0:68 offset1:85
	;; [unrolled: 1-line block ×5, first 2 shown]
	ds_store_b64 v93, v[52:53] offset:1632
	v_add_nc_u32_e32 v16, 0x400, v91
	global_wb scope:SCOPE_SE
	s_wait_dscnt 0x0
	s_barrier_signal -1
	s_barrier_wait -1
	global_inv scope:SCOPE_SE
	ds_load_2addr_b64 v[12:15], v91 offset1:85
	ds_load_2addr_b64 v[24:27], v16 offset0:93 offset1:178
	ds_load_2addr_b64 v[28:31], v20 offset0:58 offset1:143
	ds_load_2addr_b64 v[20:23], v21 offset0:151 offset1:236
	ds_load_2addr_b64 v[16:19], v56 offset0:116 offset1:201
	v_add_nc_u32_e32 v32, 0x2a8, v94
	s_and_saveexec_b32 s1, s0
	s_cbranch_execz .LBB0_19
; %bb.18:
	v_add_nc_u32_e32 v8, 0x500, v91
	v_add_nc_u32_e32 v33, 0x1300, v91
	ds_load_2addr_b64 v[8:11], v8 offset0:10 offset1:231
	ds_load_2addr_b64 v[52:55], v33 offset0:4 offset1:225
	ds_load_b64 v[72:73], v91 offset:8432
.LBB0_19:
	s_wait_alu 0xfffe
	s_or_b32 exec_lo, exec_lo, s1
	s_wait_dscnt 0x3
	v_mul_f32_e32 v33, v45, v25
	s_wait_dscnt 0x2
	v_dual_mul_f32 v34, v45, v24 :: v_dual_mul_f32 v35, v47, v29
	v_mul_f32_e32 v45, v47, v28
	s_delay_alu instid0(VALU_DEP_3) | instskip(NEXT) | instid1(VALU_DEP_3)
	v_fmac_f32_e32 v33, v44, v24
	v_fma_f32 v24, v44, v25, -v34
	s_wait_dscnt 0x1
	v_mul_f32_e32 v25, v41, v21
	s_wait_dscnt 0x0
	v_dual_mul_f32 v34, v41, v20 :: v_dual_mul_f32 v41, v43, v17
	v_fmac_f32_e32 v35, v46, v28
	v_fma_f32 v28, v46, v29, -v45
	v_fmac_f32_e32 v25, v40, v20
	s_delay_alu instid0(VALU_DEP_4) | instskip(SKIP_4) | instid1(VALU_DEP_4)
	v_fma_f32 v29, v40, v21, -v34
	v_mul_f32_e32 v34, v49, v27
	v_mul_f32_e32 v40, v51, v31
	;; [unrolled: 1-line block ×4, first 2 shown]
	v_fmac_f32_e32 v34, v48, v26
	s_delay_alu instid0(VALU_DEP_4)
	v_fmac_f32_e32 v40, v50, v30
	v_fmac_f32_e32 v41, v42, v16
	v_mul_f32_e32 v16, v43, v16
	v_fma_f32 v43, v48, v27, -v20
	v_add_f32_e32 v20, v12, v33
	v_fma_f32 v44, v50, v31, -v21
	s_delay_alu instid0(VALU_DEP_4)
	v_fma_f32 v42, v42, v17, -v16
	v_add_f32_e32 v16, v35, v25
	v_sub_f32_e32 v26, v41, v25
	v_mul_f32_e32 v31, v37, v23
	v_mul_f32_e32 v17, v37, v22
	v_sub_f32_e32 v21, v24, v42
	v_fma_f32 v16, -0.5, v16, v12
	v_mul_f32_e32 v37, v39, v18
	v_dual_fmac_f32 v31, v36, v22 :: v_dual_add_f32 v30, v33, v41
	v_sub_f32_e32 v22, v33, v35
	v_mul_f32_e32 v27, v39, v19
	v_fma_f32 v36, v36, v23, -v17
	v_dual_add_f32 v17, v20, v35 :: v_dual_fmamk_f32 v20, v21, 0xbf737871, v16
	v_fmac_f32_e32 v16, 0x3f737871, v21
	v_dual_add_f32 v26, v22, v26 :: v_dual_sub_f32 v23, v28, v29
	v_fma_f32 v37, v38, v19, -v37
	s_delay_alu instid0(VALU_DEP_2) | instskip(NEXT) | instid1(VALU_DEP_1)
	v_fmac_f32_e32 v20, 0xbf167918, v23
	v_dual_fmac_f32 v20, 0x3e9e377a, v26 :: v_dual_add_f32 v17, v17, v25
	v_fmac_f32_e32 v27, v38, v18
	v_fma_f32 v18, -0.5, v30, v12
	v_dual_sub_f32 v19, v25, v41 :: v_dual_fmac_f32 v16, 0x3f167918, v23
	v_dual_add_f32 v30, v13, v24 :: v_dual_sub_f32 v25, v35, v25
	s_delay_alu instid0(VALU_DEP_3) | instskip(SKIP_3) | instid1(VALU_DEP_4)
	v_fmamk_f32 v12, v23, 0x3f737871, v18
	v_add_f32_e32 v22, v17, v41
	v_dual_sub_f32 v17, v35, v33 :: v_dual_fmac_f32 v18, 0xbf737871, v23
	v_add_f32_e32 v38, v28, v29
	v_dual_fmac_f32 v12, 0xbf167918, v21 :: v_dual_add_f32 v23, v30, v28
	s_delay_alu instid0(VALU_DEP_3) | instskip(SKIP_1) | instid1(VALU_DEP_4)
	v_add_f32_e32 v19, v17, v19
	v_dual_sub_f32 v30, v33, v41 :: v_dual_sub_f32 v33, v24, v28
	v_fma_f32 v17, -0.5, v38, v13
	s_delay_alu instid0(VALU_DEP_4) | instskip(SKIP_1) | instid1(VALU_DEP_3)
	v_dual_fmac_f32 v16, 0x3e9e377a, v26 :: v_dual_add_f32 v23, v23, v29
	v_fmac_f32_e32 v18, 0x3f167918, v21
	v_dual_add_f32 v26, v24, v42 :: v_dual_fmamk_f32 v21, v30, 0x3f737871, v17
	v_dual_fmac_f32 v12, 0x3e9e377a, v19 :: v_dual_sub_f32 v35, v42, v29
	s_delay_alu instid0(VALU_DEP_4) | instskip(SKIP_1) | instid1(VALU_DEP_4)
	v_add_f32_e32 v23, v23, v42
	v_dual_fmac_f32 v17, 0xbf737871, v30 :: v_dual_sub_f32 v24, v28, v24
	v_fmac_f32_e32 v21, 0x3f167918, v25
	v_fmac_f32_e32 v18, 0x3e9e377a, v19
	v_fma_f32 v19, -0.5, v26, v13
	v_add_f32_e32 v26, v33, v35
	v_dual_sub_f32 v28, v29, v42 :: v_dual_fmac_f32 v17, 0xbf167918, v25
	v_add_f32_e32 v29, v40, v31
	s_delay_alu instid0(VALU_DEP_4) | instskip(SKIP_3) | instid1(VALU_DEP_4)
	v_fmamk_f32 v13, v25, 0xbf737871, v19
	v_sub_f32_e32 v33, v44, v36
	v_sub_f32_e32 v35, v27, v31
	v_dual_fmac_f32 v19, 0x3f737871, v25 :: v_dual_add_f32 v28, v24, v28
	v_dual_fmac_f32 v13, 0x3f167918, v30 :: v_dual_add_f32 v38, v34, v27
	v_fmac_f32_e32 v21, 0x3e9e377a, v26
	s_delay_alu instid0(VALU_DEP_3) | instskip(SKIP_3) | instid1(VALU_DEP_4)
	v_dual_fmac_f32 v19, 0xbf167918, v30 :: v_dual_sub_f32 v30, v34, v40
	v_fma_f32 v24, -0.5, v29, v14
	v_sub_f32_e32 v29, v43, v37
	v_add_f32_e32 v25, v14, v34
	v_dual_fmac_f32 v17, 0x3e9e377a, v26 :: v_dual_add_f32 v30, v30, v35
	v_fma_f32 v14, -0.5, v38, v14
	s_delay_alu instid0(VALU_DEP_4) | instskip(NEXT) | instid1(VALU_DEP_4)
	v_fmamk_f32 v26, v29, 0xbf737871, v24
	v_dual_add_f32 v25, v25, v40 :: v_dual_sub_f32 v38, v40, v34
	v_sub_f32_e32 v34, v34, v27
	s_delay_alu instid0(VALU_DEP_2) | instskip(SKIP_1) | instid1(VALU_DEP_2)
	v_dual_fmac_f32 v26, 0xbf167918, v33 :: v_dual_add_f32 v25, v25, v31
	v_fmac_f32_e32 v13, 0x3e9e377a, v28
	v_dual_fmac_f32 v19, 0x3e9e377a, v28 :: v_dual_fmac_f32 v26, 0x3e9e377a, v30
	s_delay_alu instid0(VALU_DEP_3) | instskip(SKIP_1) | instid1(VALU_DEP_1)
	v_add_f32_e32 v28, v25, v27
	v_dual_fmac_f32 v24, 0x3f737871, v29 :: v_dual_add_f32 v25, v15, v43
	v_fmac_f32_e32 v24, 0x3f167918, v33
	s_delay_alu instid0(VALU_DEP_1) | instskip(SKIP_2) | instid1(VALU_DEP_2)
	v_fmac_f32_e32 v24, 0x3e9e377a, v30
	v_dual_fmamk_f32 v30, v33, 0x3f737871, v14 :: v_dual_add_f32 v35, v44, v36
	v_dual_fmac_f32 v14, 0xbf737871, v33 :: v_dual_sub_f32 v39, v31, v27
	v_dual_add_f32 v33, v25, v44 :: v_dual_fmac_f32 v30, 0xbf167918, v29
	s_delay_alu instid0(VALU_DEP_3) | instskip(NEXT) | instid1(VALU_DEP_3)
	v_fma_f32 v25, -0.5, v35, v15
	v_dual_fmac_f32 v14, 0x3f167918, v29 :: v_dual_add_f32 v35, v38, v39
	s_delay_alu instid0(VALU_DEP_3) | instskip(SKIP_1) | instid1(VALU_DEP_4)
	v_add_f32_e32 v29, v33, v36
	v_dual_add_f32 v33, v43, v37 :: v_dual_sub_f32 v38, v40, v31
	v_fmamk_f32 v27, v34, 0x3f737871, v25
	s_delay_alu instid0(VALU_DEP_4) | instskip(NEXT) | instid1(VALU_DEP_3)
	v_fmac_f32_e32 v14, 0x3e9e377a, v35
	v_dual_fmac_f32 v30, 0x3e9e377a, v35 :: v_dual_fmac_f32 v15, -0.5, v33
	v_sub_f32_e32 v33, v43, v44
	v_sub_f32_e32 v35, v37, v36
	v_fmac_f32_e32 v25, 0xbf737871, v34
	v_sub_f32_e32 v39, v44, v43
	v_fmamk_f32 v31, v38, 0xbf737871, v15
	v_dual_fmac_f32 v15, 0x3f737871, v38 :: v_dual_sub_f32 v36, v36, v37
	v_add_f32_e32 v29, v29, v37
	v_fmac_f32_e32 v27, 0x3f167918, v38
	v_add_f32_e32 v33, v33, v35
	v_fmac_f32_e32 v25, 0xbf167918, v38
	v_fmac_f32_e32 v31, 0x3f167918, v34
	;; [unrolled: 1-line block ×3, first 2 shown]
	v_add_nc_u32_e32 v34, 0x600, v92
	v_add_f32_e32 v35, v39, v36
	v_fmac_f32_e32 v27, 0x3e9e377a, v33
	v_fmac_f32_e32 v25, 0x3e9e377a, v33
	v_add_nc_u32_e32 v33, 0x1400, v92
	ds_store_2addr_b64 v34, v[20:21], v[12:13] offset0:29 offset1:250
	v_lshl_add_u32 v12, v89, 3, v87
	v_fmac_f32_e32 v31, 0x3e9e377a, v35
	v_add_nc_u32_e32 v13, 0x600, v32
	v_fmac_f32_e32 v15, 0x3e9e377a, v35
	v_add_nc_u32_e32 v20, 0x1400, v32
	ds_store_2addr_b64 v33, v[18:19], v[16:17] offset0:23 offset1:244
	ds_store_2addr_b64 v92, v[22:23], v[28:29] offset1:85
	ds_store_2addr_b64 v13, v[26:27], v[30:31] offset0:29 offset1:250
	ds_store_2addr_b64 v20, v[14:15], v[24:25] offset0:23 offset1:244
	s_and_saveexec_b32 s1, s0
	s_cbranch_execz .LBB0_21
; %bb.20:
	v_dual_mul_f32 v13, v5, v10 :: v_dual_mul_f32 v14, v3, v72
	v_dual_mul_f32 v16, v7, v53 :: v_dual_mul_f32 v17, v1, v55
	v_mul_f32_e32 v1, v1, v54
	s_delay_alu instid0(VALU_DEP_3) | instskip(NEXT) | instid1(VALU_DEP_4)
	v_fma_f32 v13, v4, v11, -v13
	v_fma_f32 v14, v2, v73, -v14
	s_delay_alu instid0(VALU_DEP_4) | instskip(SKIP_4) | instid1(VALU_DEP_4)
	v_fmac_f32_e32 v16, v6, v52
	v_mul_f32_e32 v15, v7, v52
	v_dual_fmac_f32 v17, v0, v54 :: v_dual_mul_f32 v18, v3, v73
	v_mul_f32_e32 v11, v5, v11
	v_fma_f32 v19, v0, v55, -v1
	v_fma_f32 v15, v6, v53, -v15
	s_delay_alu instid0(VALU_DEP_4) | instskip(SKIP_2) | instid1(VALU_DEP_2)
	v_sub_f32_e32 v0, v16, v17
	v_add_f32_e32 v6, v13, v14
	v_dual_fmac_f32 v11, v4, v10 :: v_dual_fmac_f32 v18, v2, v72
	v_fma_f32 v1, -0.5, v6, v9
	v_sub_f32_e32 v2, v15, v13
	v_sub_f32_e32 v4, v19, v14
	s_delay_alu instid0(VALU_DEP_3) | instskip(SKIP_1) | instid1(VALU_DEP_3)
	v_dual_sub_f32 v6, v11, v18 :: v_dual_fmamk_f32 v3, v0, 0x3f737871, v1
	v_fmac_f32_e32 v1, 0xbf737871, v0
	v_dual_add_f32 v5, v15, v19 :: v_dual_add_f32 v2, v2, v4
	v_sub_f32_e32 v4, v13, v15
	s_delay_alu instid0(VALU_DEP_2) | instskip(NEXT) | instid1(VALU_DEP_1)
	v_fma_f32 v5, -0.5, v5, v9
	v_fmamk_f32 v7, v6, 0xbf737871, v5
	s_delay_alu instid0(VALU_DEP_1) | instskip(SKIP_4) | instid1(VALU_DEP_4)
	v_fmac_f32_e32 v7, 0xbf167918, v0
	v_dual_fmac_f32 v3, 0xbf167918, v6 :: v_dual_sub_f32 v10, v14, v19
	v_fmac_f32_e32 v1, 0x3f167918, v6
	v_dual_fmac_f32 v5, 0x3f737871, v6 :: v_dual_add_f32 v6, v9, v13
	v_sub_f32_e32 v13, v13, v14
	v_add_f32_e32 v4, v4, v10
	s_delay_alu instid0(VALU_DEP_4) | instskip(NEXT) | instid1(VALU_DEP_4)
	v_fmac_f32_e32 v1, 0x3e9e377a, v2
	v_dual_fmac_f32 v5, 0x3f167918, v0 :: v_dual_add_f32 v0, v6, v15
	v_dual_sub_f32 v6, v16, v11 :: v_dual_fmac_f32 v3, 0x3e9e377a, v2
	s_delay_alu instid0(VALU_DEP_4) | instskip(NEXT) | instid1(VALU_DEP_3)
	v_dual_fmac_f32 v7, 0x3e9e377a, v4 :: v_dual_add_f32 v2, v11, v18
	v_dual_fmac_f32 v5, 0x3e9e377a, v4 :: v_dual_sub_f32 v10, v17, v18
	s_delay_alu instid0(VALU_DEP_4) | instskip(SKIP_1) | instid1(VALU_DEP_4)
	v_add_f32_e32 v4, v0, v19
	v_sub_f32_e32 v15, v15, v19
	v_fma_f32 v0, -0.5, v2, v8
	s_delay_alu instid0(VALU_DEP_4) | instskip(NEXT) | instid1(VALU_DEP_2)
	v_dual_add_f32 v10, v6, v10 :: v_dual_add_f32 v19, v16, v17
	v_dual_add_f32 v9, v4, v14 :: v_dual_fmamk_f32 v2, v15, 0xbf737871, v0
	v_fmac_f32_e32 v0, 0x3f737871, v15
	v_sub_f32_e32 v14, v18, v17
	s_delay_alu instid0(VALU_DEP_4) | instskip(SKIP_3) | instid1(VALU_DEP_4)
	v_fma_f32 v4, -0.5, v19, v8
	v_dual_add_f32 v8, v8, v11 :: v_dual_sub_f32 v11, v11, v16
	v_fmac_f32_e32 v2, 0x3f167918, v13
	v_fmac_f32_e32 v0, 0xbf167918, v13
	v_fmamk_f32 v6, v13, 0x3f737871, v4
	s_delay_alu instid0(VALU_DEP_4) | instskip(SKIP_2) | instid1(VALU_DEP_4)
	v_dual_fmac_f32 v4, 0xbf737871, v13 :: v_dual_add_f32 v11, v11, v14
	v_add_f32_e32 v8, v8, v16
	v_fmac_f32_e32 v2, 0x3e9e377a, v10
	v_fmac_f32_e32 v6, 0x3f167918, v15
	s_delay_alu instid0(VALU_DEP_4) | instskip(SKIP_3) | instid1(VALU_DEP_4)
	v_fmac_f32_e32 v4, 0xbf167918, v15
	v_fmac_f32_e32 v0, 0x3e9e377a, v10
	v_dual_add_f32 v8, v8, v17 :: v_dual_add_nc_u32 v13, 0x1300, v12
	v_add_nc_u32_e32 v10, 0x500, v12
	v_fmac_f32_e32 v4, 0x3e9e377a, v11
	v_fmac_f32_e32 v6, 0x3e9e377a, v11
	s_delay_alu instid0(VALU_DEP_4)
	v_add_f32_e32 v8, v8, v18
	ds_store_2addr_b64 v10, v[8:9], v[4:5] offset0:10 offset1:231
	ds_store_2addr_b64 v13, v[0:1], v[2:3] offset0:4 offset1:225
	ds_store_b64 v12, v[6:7] offset:8432
.LBB0_21:
	s_wait_alu 0xfffe
	s_or_b32 exec_lo, exec_lo, s1
	global_wb scope:SCOPE_SE
	s_wait_dscnt 0x0
	s_barrier_signal -1
	s_barrier_wait -1
	global_inv scope:SCOPE_SE
	s_and_b32 exec_lo, exec_lo, vcc_lo
	s_cbranch_execz .LBB0_23
; %bb.22:
	global_load_b64 v[0:1], v87, s[8:9]
	ds_load_b64 v[2:3], v92
	v_mad_co_u64_u32 v[6:7], null, s4, v88, 0
	s_mov_b32 s0, 0x1da7801e
	s_mov_b32 s1, 0x3f4da780
	s_mul_u64 s[2:3], s[4:5], 0x208
	s_wait_loadcnt_dscnt 0x0
	v_mul_f32_e32 v4, v3, v1
	v_mul_f32_e32 v1, v2, v1
	s_delay_alu instid0(VALU_DEP_2) | instskip(NEXT) | instid1(VALU_DEP_2)
	v_fmac_f32_e32 v4, v2, v0
	v_fma_f32 v2, v0, v3, -v1
	s_delay_alu instid0(VALU_DEP_2) | instskip(NEXT) | instid1(VALU_DEP_2)
	v_cvt_f64_f32_e32 v[0:1], v4
	v_cvt_f64_f32_e32 v[2:3], v2
	v_mad_co_u64_u32 v[4:5], null, s6, v84, 0
	s_wait_alu 0xfffe
	s_delay_alu instid0(VALU_DEP_3) | instskip(NEXT) | instid1(VALU_DEP_3)
	v_mul_f64_e32 v[0:1], s[0:1], v[0:1]
	v_mul_f64_e32 v[2:3], s[0:1], v[2:3]
	s_delay_alu instid0(VALU_DEP_2) | instskip(NEXT) | instid1(VALU_DEP_2)
	v_cvt_f32_f64_e32 v0, v[0:1]
	v_cvt_f32_f64_e32 v1, v[2:3]
	v_dual_mov_b32 v3, v7 :: v_dual_mov_b32 v2, v5
	s_delay_alu instid0(VALU_DEP_1) | instskip(SKIP_1) | instid1(VALU_DEP_2)
	v_mad_co_u64_u32 v[7:8], null, s7, v84, v[2:3]
	v_mad_co_u64_u32 v[2:3], null, s5, v88, v[3:4]
	v_mov_b32_e32 v5, v7
	s_delay_alu instid0(VALU_DEP_2) | instskip(NEXT) | instid1(VALU_DEP_2)
	v_mov_b32_e32 v7, v2
	v_lshlrev_b64_e32 v[2:3], 3, v[4:5]
	s_delay_alu instid0(VALU_DEP_2) | instskip(NEXT) | instid1(VALU_DEP_2)
	v_lshlrev_b64_e32 v[4:5], 3, v[6:7]
	v_add_co_u32 v2, vcc_lo, s12, v2
	s_delay_alu instid0(VALU_DEP_3) | instskip(NEXT) | instid1(VALU_DEP_2)
	v_add_co_ci_u32_e32 v3, vcc_lo, s13, v3, vcc_lo
	v_add_co_u32 v4, vcc_lo, v2, v4
	s_wait_alu 0xfffd
	s_delay_alu instid0(VALU_DEP_2)
	v_add_co_ci_u32_e32 v5, vcc_lo, v3, v5, vcc_lo
	global_store_b64 v[4:5], v[0:1], off
	global_load_b64 v[6:7], v87, s[8:9] offset:520
	ds_load_2addr_b64 v[0:3], v12 offset0:65 offset1:130
	v_add_co_u32 v4, vcc_lo, v4, s2
	s_wait_alu 0xfffd
	v_add_co_ci_u32_e32 v5, vcc_lo, s3, v5, vcc_lo
	s_wait_loadcnt_dscnt 0x0
	v_mul_f32_e32 v8, v1, v7
	v_mul_f32_e32 v7, v0, v7
	s_delay_alu instid0(VALU_DEP_2) | instskip(NEXT) | instid1(VALU_DEP_2)
	v_fmac_f32_e32 v8, v0, v6
	v_fma_f32 v6, v6, v1, -v7
	s_delay_alu instid0(VALU_DEP_2) | instskip(NEXT) | instid1(VALU_DEP_2)
	v_cvt_f64_f32_e32 v[0:1], v8
	v_cvt_f64_f32_e32 v[6:7], v6
	s_delay_alu instid0(VALU_DEP_2) | instskip(NEXT) | instid1(VALU_DEP_2)
	v_mul_f64_e32 v[0:1], s[0:1], v[0:1]
	v_mul_f64_e32 v[6:7], s[0:1], v[6:7]
	s_delay_alu instid0(VALU_DEP_2) | instskip(NEXT) | instid1(VALU_DEP_2)
	v_cvt_f32_f64_e32 v0, v[0:1]
	v_cvt_f32_f64_e32 v1, v[6:7]
	global_store_b64 v[4:5], v[0:1], off
	global_load_b64 v[0:1], v87, s[8:9] offset:1040
	v_add_co_u32 v4, vcc_lo, v4, s2
	s_wait_alu 0xfffd
	v_add_co_ci_u32_e32 v5, vcc_lo, s3, v5, vcc_lo
	s_wait_loadcnt 0x0
	v_mul_f32_e32 v6, v3, v1
	v_mul_f32_e32 v1, v2, v1
	s_delay_alu instid0(VALU_DEP_2) | instskip(NEXT) | instid1(VALU_DEP_2)
	v_fmac_f32_e32 v6, v2, v0
	v_fma_f32 v2, v0, v3, -v1
	s_delay_alu instid0(VALU_DEP_2) | instskip(NEXT) | instid1(VALU_DEP_2)
	v_cvt_f64_f32_e32 v[0:1], v6
	v_cvt_f64_f32_e32 v[2:3], v2
	s_delay_alu instid0(VALU_DEP_2) | instskip(NEXT) | instid1(VALU_DEP_2)
	v_mul_f64_e32 v[0:1], s[0:1], v[0:1]
	v_mul_f64_e32 v[2:3], s[0:1], v[2:3]
	s_delay_alu instid0(VALU_DEP_2) | instskip(NEXT) | instid1(VALU_DEP_2)
	v_cvt_f32_f64_e32 v0, v[0:1]
	v_cvt_f32_f64_e32 v1, v[2:3]
	global_store_b64 v[4:5], v[0:1], off
	global_load_b64 v[6:7], v87, s[8:9] offset:1560
	v_add_nc_u32_e32 v0, 0x400, v12
	v_add_co_u32 v4, vcc_lo, v4, s2
	s_wait_alu 0xfffd
	v_add_co_ci_u32_e32 v5, vcc_lo, s3, v5, vcc_lo
	ds_load_2addr_b64 v[0:3], v0 offset0:67 offset1:132
	s_wait_loadcnt_dscnt 0x0
	v_mul_f32_e32 v8, v1, v7
	v_mul_f32_e32 v7, v0, v7
	s_delay_alu instid0(VALU_DEP_2) | instskip(NEXT) | instid1(VALU_DEP_2)
	v_fmac_f32_e32 v8, v0, v6
	v_fma_f32 v6, v6, v1, -v7
	s_delay_alu instid0(VALU_DEP_2) | instskip(NEXT) | instid1(VALU_DEP_2)
	v_cvt_f64_f32_e32 v[0:1], v8
	v_cvt_f64_f32_e32 v[6:7], v6
	s_delay_alu instid0(VALU_DEP_2) | instskip(NEXT) | instid1(VALU_DEP_2)
	v_mul_f64_e32 v[0:1], s[0:1], v[0:1]
	v_mul_f64_e32 v[6:7], s[0:1], v[6:7]
	s_delay_alu instid0(VALU_DEP_2) | instskip(NEXT) | instid1(VALU_DEP_2)
	v_cvt_f32_f64_e32 v0, v[0:1]
	v_cvt_f32_f64_e32 v1, v[6:7]
	global_store_b64 v[4:5], v[0:1], off
	global_load_b64 v[0:1], v87, s[8:9] offset:2080
	v_add_co_u32 v4, vcc_lo, v4, s2
	s_wait_alu 0xfffd
	v_add_co_ci_u32_e32 v5, vcc_lo, s3, v5, vcc_lo
	s_wait_loadcnt 0x0
	v_mul_f32_e32 v6, v3, v1
	v_mul_f32_e32 v1, v2, v1
	s_delay_alu instid0(VALU_DEP_2) | instskip(NEXT) | instid1(VALU_DEP_2)
	v_fmac_f32_e32 v6, v2, v0
	v_fma_f32 v2, v0, v3, -v1
	s_delay_alu instid0(VALU_DEP_2) | instskip(NEXT) | instid1(VALU_DEP_2)
	v_cvt_f64_f32_e32 v[0:1], v6
	v_cvt_f64_f32_e32 v[2:3], v2
	s_delay_alu instid0(VALU_DEP_2) | instskip(NEXT) | instid1(VALU_DEP_2)
	v_mul_f64_e32 v[0:1], s[0:1], v[0:1]
	v_mul_f64_e32 v[2:3], s[0:1], v[2:3]
	s_delay_alu instid0(VALU_DEP_2) | instskip(NEXT) | instid1(VALU_DEP_2)
	v_cvt_f32_f64_e32 v0, v[0:1]
	v_cvt_f32_f64_e32 v1, v[2:3]
	global_store_b64 v[4:5], v[0:1], off
	global_load_b64 v[6:7], v87, s[8:9] offset:2600
	v_add_nc_u32_e32 v0, 0x800, v12
	v_add_co_u32 v4, vcc_lo, v4, s2
	s_wait_alu 0xfffd
	v_add_co_ci_u32_e32 v5, vcc_lo, s3, v5, vcc_lo
	ds_load_2addr_b64 v[0:3], v0 offset0:69 offset1:134
	;; [unrolled: 42-line block ×7, first 2 shown]
	s_wait_loadcnt_dscnt 0x0
	v_mul_f32_e32 v8, v1, v7
	v_mul_f32_e32 v7, v0, v7
	s_delay_alu instid0(VALU_DEP_2) | instskip(NEXT) | instid1(VALU_DEP_2)
	v_fmac_f32_e32 v8, v0, v6
	v_fma_f32 v6, v6, v1, -v7
	s_delay_alu instid0(VALU_DEP_2) | instskip(NEXT) | instid1(VALU_DEP_2)
	v_cvt_f64_f32_e32 v[0:1], v8
	v_cvt_f64_f32_e32 v[6:7], v6
	s_delay_alu instid0(VALU_DEP_2) | instskip(NEXT) | instid1(VALU_DEP_2)
	v_mul_f64_e32 v[0:1], s[0:1], v[0:1]
	v_mul_f64_e32 v[6:7], s[0:1], v[6:7]
	s_delay_alu instid0(VALU_DEP_2) | instskip(NEXT) | instid1(VALU_DEP_2)
	v_cvt_f32_f64_e32 v0, v[0:1]
	v_cvt_f32_f64_e32 v1, v[6:7]
	global_store_b64 v[4:5], v[0:1], off
	global_load_b64 v[0:1], v87, s[8:9] offset:8320
	s_wait_loadcnt 0x0
	v_mul_f32_e32 v6, v3, v1
	v_mul_f32_e32 v1, v2, v1
	s_delay_alu instid0(VALU_DEP_2) | instskip(NEXT) | instid1(VALU_DEP_2)
	v_fmac_f32_e32 v6, v2, v0
	v_fma_f32 v2, v0, v3, -v1
	s_delay_alu instid0(VALU_DEP_2) | instskip(NEXT) | instid1(VALU_DEP_2)
	v_cvt_f64_f32_e32 v[0:1], v6
	v_cvt_f64_f32_e32 v[2:3], v2
	s_delay_alu instid0(VALU_DEP_2) | instskip(NEXT) | instid1(VALU_DEP_2)
	v_mul_f64_e32 v[0:1], s[0:1], v[0:1]
	v_mul_f64_e32 v[2:3], s[0:1], v[2:3]
	s_delay_alu instid0(VALU_DEP_2) | instskip(NEXT) | instid1(VALU_DEP_2)
	v_cvt_f32_f64_e32 v0, v[0:1]
	v_cvt_f32_f64_e32 v1, v[2:3]
	v_add_co_u32 v2, vcc_lo, v4, s2
	s_wait_alu 0xfffd
	v_add_co_ci_u32_e32 v3, vcc_lo, s3, v5, vcc_lo
	global_store_b64 v[2:3], v[0:1], off
.LBB0_23:
	s_nop 0
	s_sendmsg sendmsg(MSG_DEALLOC_VGPRS)
	s_endpgm
	.section	.rodata,"a",@progbits
	.p2align	6, 0x0
	.amdhsa_kernel bluestein_single_fwd_len1105_dim1_sp_op_CI_CI
		.amdhsa_group_segment_fixed_size 26520
		.amdhsa_private_segment_fixed_size 0
		.amdhsa_kernarg_size 104
		.amdhsa_user_sgpr_count 2
		.amdhsa_user_sgpr_dispatch_ptr 0
		.amdhsa_user_sgpr_queue_ptr 0
		.amdhsa_user_sgpr_kernarg_segment_ptr 1
		.amdhsa_user_sgpr_dispatch_id 0
		.amdhsa_user_sgpr_private_segment_size 0
		.amdhsa_wavefront_size32 1
		.amdhsa_uses_dynamic_stack 0
		.amdhsa_enable_private_segment 0
		.amdhsa_system_sgpr_workgroup_id_x 1
		.amdhsa_system_sgpr_workgroup_id_y 0
		.amdhsa_system_sgpr_workgroup_id_z 0
		.amdhsa_system_sgpr_workgroup_info 0
		.amdhsa_system_vgpr_workitem_id 0
		.amdhsa_next_free_vgpr 204
		.amdhsa_next_free_sgpr 14
		.amdhsa_reserve_vcc 1
		.amdhsa_float_round_mode_32 0
		.amdhsa_float_round_mode_16_64 0
		.amdhsa_float_denorm_mode_32 3
		.amdhsa_float_denorm_mode_16_64 3
		.amdhsa_fp16_overflow 0
		.amdhsa_workgroup_processor_mode 1
		.amdhsa_memory_ordered 1
		.amdhsa_forward_progress 0
		.amdhsa_round_robin_scheduling 0
		.amdhsa_exception_fp_ieee_invalid_op 0
		.amdhsa_exception_fp_denorm_src 0
		.amdhsa_exception_fp_ieee_div_zero 0
		.amdhsa_exception_fp_ieee_overflow 0
		.amdhsa_exception_fp_ieee_underflow 0
		.amdhsa_exception_fp_ieee_inexact 0
		.amdhsa_exception_int_div_zero 0
	.end_amdhsa_kernel
	.text
.Lfunc_end0:
	.size	bluestein_single_fwd_len1105_dim1_sp_op_CI_CI, .Lfunc_end0-bluestein_single_fwd_len1105_dim1_sp_op_CI_CI
                                        ; -- End function
	.section	.AMDGPU.csdata,"",@progbits
; Kernel info:
; codeLenInByte = 26084
; NumSgprs: 16
; NumVgprs: 204
; ScratchSize: 0
; MemoryBound: 0
; FloatMode: 240
; IeeeMode: 1
; LDSByteSize: 26520 bytes/workgroup (compile time only)
; SGPRBlocks: 1
; VGPRBlocks: 25
; NumSGPRsForWavesPerEU: 16
; NumVGPRsForWavesPerEU: 204
; Occupancy: 7
; WaveLimiterHint : 1
; COMPUTE_PGM_RSRC2:SCRATCH_EN: 0
; COMPUTE_PGM_RSRC2:USER_SGPR: 2
; COMPUTE_PGM_RSRC2:TRAP_HANDLER: 0
; COMPUTE_PGM_RSRC2:TGID_X_EN: 1
; COMPUTE_PGM_RSRC2:TGID_Y_EN: 0
; COMPUTE_PGM_RSRC2:TGID_Z_EN: 0
; COMPUTE_PGM_RSRC2:TIDIG_COMP_CNT: 0
	.text
	.p2alignl 7, 3214868480
	.fill 96, 4, 3214868480
	.type	__hip_cuid_7244a634bbfff0b3,@object ; @__hip_cuid_7244a634bbfff0b3
	.section	.bss,"aw",@nobits
	.globl	__hip_cuid_7244a634bbfff0b3
__hip_cuid_7244a634bbfff0b3:
	.byte	0                               ; 0x0
	.size	__hip_cuid_7244a634bbfff0b3, 1

	.ident	"AMD clang version 19.0.0git (https://github.com/RadeonOpenCompute/llvm-project roc-6.4.0 25133 c7fe45cf4b819c5991fe208aaa96edf142730f1d)"
	.section	".note.GNU-stack","",@progbits
	.addrsig
	.addrsig_sym __hip_cuid_7244a634bbfff0b3
	.amdgpu_metadata
---
amdhsa.kernels:
  - .args:
      - .actual_access:  read_only
        .address_space:  global
        .offset:         0
        .size:           8
        .value_kind:     global_buffer
      - .actual_access:  read_only
        .address_space:  global
        .offset:         8
        .size:           8
        .value_kind:     global_buffer
      - .actual_access:  read_only
        .address_space:  global
        .offset:         16
        .size:           8
        .value_kind:     global_buffer
      - .actual_access:  read_only
        .address_space:  global
        .offset:         24
        .size:           8
        .value_kind:     global_buffer
      - .actual_access:  read_only
        .address_space:  global
        .offset:         32
        .size:           8
        .value_kind:     global_buffer
      - .offset:         40
        .size:           8
        .value_kind:     by_value
      - .address_space:  global
        .offset:         48
        .size:           8
        .value_kind:     global_buffer
      - .address_space:  global
        .offset:         56
        .size:           8
        .value_kind:     global_buffer
      - .address_space:  global
        .offset:         64
        .size:           8
        .value_kind:     global_buffer
      - .address_space:  global
        .offset:         72
        .size:           8
        .value_kind:     global_buffer
      - .offset:         80
        .size:           4
        .value_kind:     by_value
      - .address_space:  global
        .offset:         88
        .size:           8
        .value_kind:     global_buffer
      - .address_space:  global
        .offset:         96
        .size:           8
        .value_kind:     global_buffer
    .group_segment_fixed_size: 26520
    .kernarg_segment_align: 8
    .kernarg_segment_size: 104
    .language:       OpenCL C
    .language_version:
      - 2
      - 0
    .max_flat_workgroup_size: 255
    .name:           bluestein_single_fwd_len1105_dim1_sp_op_CI_CI
    .private_segment_fixed_size: 0
    .sgpr_count:     16
    .sgpr_spill_count: 0
    .symbol:         bluestein_single_fwd_len1105_dim1_sp_op_CI_CI.kd
    .uniform_work_group_size: 1
    .uses_dynamic_stack: false
    .vgpr_count:     204
    .vgpr_spill_count: 0
    .wavefront_size: 32
    .workgroup_processor_mode: 1
amdhsa.target:   amdgcn-amd-amdhsa--gfx1201
amdhsa.version:
  - 1
  - 2
...

	.end_amdgpu_metadata
